;; amdgpu-corpus repo=pytorch/pytorch kind=compiled arch=gfx906 opt=O3
	.amdgcn_target "amdgcn-amd-amdhsa--gfx906"
	.amdhsa_code_object_version 6
	.section	.text._ZN7rocprim17ROCPRIM_304000_NS6detail28radix_sort_block_sort_kernelINS1_36wrapped_radix_sort_block_sort_configINS0_13kernel_configILj256ELj4ELj4294967295EEEiN2at4cuda3cub6detail10OpaqueTypeILi2EEEEELb1EPKiPiPKSB_PSB_NS0_19identity_decomposerEEEvT1_T2_T3_T4_jT5_jj,"axG",@progbits,_ZN7rocprim17ROCPRIM_304000_NS6detail28radix_sort_block_sort_kernelINS1_36wrapped_radix_sort_block_sort_configINS0_13kernel_configILj256ELj4ELj4294967295EEEiN2at4cuda3cub6detail10OpaqueTypeILi2EEEEELb1EPKiPiPKSB_PSB_NS0_19identity_decomposerEEEvT1_T2_T3_T4_jT5_jj,comdat
	.protected	_ZN7rocprim17ROCPRIM_304000_NS6detail28radix_sort_block_sort_kernelINS1_36wrapped_radix_sort_block_sort_configINS0_13kernel_configILj256ELj4ELj4294967295EEEiN2at4cuda3cub6detail10OpaqueTypeILi2EEEEELb1EPKiPiPKSB_PSB_NS0_19identity_decomposerEEEvT1_T2_T3_T4_jT5_jj ; -- Begin function _ZN7rocprim17ROCPRIM_304000_NS6detail28radix_sort_block_sort_kernelINS1_36wrapped_radix_sort_block_sort_configINS0_13kernel_configILj256ELj4ELj4294967295EEEiN2at4cuda3cub6detail10OpaqueTypeILi2EEEEELb1EPKiPiPKSB_PSB_NS0_19identity_decomposerEEEvT1_T2_T3_T4_jT5_jj
	.globl	_ZN7rocprim17ROCPRIM_304000_NS6detail28radix_sort_block_sort_kernelINS1_36wrapped_radix_sort_block_sort_configINS0_13kernel_configILj256ELj4ELj4294967295EEEiN2at4cuda3cub6detail10OpaqueTypeILi2EEEEELb1EPKiPiPKSB_PSB_NS0_19identity_decomposerEEEvT1_T2_T3_T4_jT5_jj
	.p2align	8
	.type	_ZN7rocprim17ROCPRIM_304000_NS6detail28radix_sort_block_sort_kernelINS1_36wrapped_radix_sort_block_sort_configINS0_13kernel_configILj256ELj4ELj4294967295EEEiN2at4cuda3cub6detail10OpaqueTypeILi2EEEEELb1EPKiPiPKSB_PSB_NS0_19identity_decomposerEEEvT1_T2_T3_T4_jT5_jj,@function
_ZN7rocprim17ROCPRIM_304000_NS6detail28radix_sort_block_sort_kernelINS1_36wrapped_radix_sort_block_sort_configINS0_13kernel_configILj256ELj4ELj4294967295EEEiN2at4cuda3cub6detail10OpaqueTypeILi2EEEEELb1EPKiPiPKSB_PSB_NS0_19identity_decomposerEEEvT1_T2_T3_T4_jT5_jj: ; @_ZN7rocprim17ROCPRIM_304000_NS6detail28radix_sort_block_sort_kernelINS1_36wrapped_radix_sort_block_sort_configINS0_13kernel_configILj256ELj4ELj4294967295EEEiN2at4cuda3cub6detail10OpaqueTypeILi2EEEEELb1EPKiPiPKSB_PSB_NS0_19identity_decomposerEEEvT1_T2_T3_T4_jT5_jj
; %bb.0:
	s_load_dword s2, s[4:5], 0x20
	s_load_dwordx8 s[36:43], s[4:5], 0x0
	s_lshl_b32 s28, s6, 10
	s_mov_b32 s29, 0
	v_mbcnt_lo_u32_b32 v3, -1, 0
	s_waitcnt lgkmcnt(0)
	s_lshr_b32 s0, s2, 10
	s_cmp_lg_u32 s6, s0
	s_cselect_b64 s[30:31], -1, 0
	s_lshl_b64 s[34:35], s[28:29], 2
	s_add_u32 s1, s36, s34
	v_mbcnt_hi_u32_b32 v9, -1, v3
	s_addc_u32 s3, s37, s35
	v_lshlrev_b32_e32 v11, 2, v0
	v_lshlrev_b32_e32 v3, 2, v9
	v_and_b32_e32 v15, 0x300, v11
	v_mov_b32_e32 v4, s3
	v_add_co_u32_e32 v3, vcc, s1, v3
	v_addc_co_u32_e32 v4, vcc, 0, v4, vcc
	v_lshlrev_b32_e32 v5, 2, v15
	v_add_co_u32_e32 v7, vcc, v3, v5
	s_cmp_eq_u32 s6, s0
	v_addc_co_u32_e32 v8, vcc, 0, v4, vcc
	v_lshlrev_b32_e32 v14, 1, v9
	v_lshlrev_b32_e32 v13, 1, v15
	v_add_u32_e32 v12, v9, v15
	s_cbranch_scc1 .LBB0_2
; %bb.1:
	s_lshl_b64 s[0:1], s[28:29], 1
	s_add_u32 s0, s40, s0
	s_addc_u32 s1, s41, s1
	v_mov_b32_e32 v10, s1
	v_add_co_u32_e32 v16, vcc, s0, v14
	v_addc_co_u32_e32 v10, vcc, 0, v10, vcc
	v_add_co_u32_e32 v16, vcc, v16, v13
	v_addc_co_u32_e32 v17, vcc, 0, v10, vcc
	global_load_dword v3, v[7:8], off
	global_load_dword v4, v[7:8], off offset:256
	global_load_dword v5, v[7:8], off offset:512
	;; [unrolled: 1-line block ×3, first 2 shown]
	global_load_ushort v10, v[16:17], off
	global_load_ushort v34, v[16:17], off offset:128
	global_load_ushort v35, v[16:17], off offset:256
	;; [unrolled: 1-line block ×3, first 2 shown]
	v_add_u32_e32 v24, v9, v15
	v_add_u32_e32 v21, 64, v24
	;; [unrolled: 1-line block ×4, first 2 shown]
	s_sub_i32 s33, s2, s28
	s_cbranch_execz .LBB0_3
	s_branch .LBB0_17
.LBB0_2:
                                        ; implicit-def: $vgpr3_vgpr4_vgpr5_vgpr6
                                        ; implicit-def: $vgpr10
                                        ; implicit-def: $vgpr34
                                        ; implicit-def: $vgpr35
                                        ; implicit-def: $vgpr36
                                        ; implicit-def: $vgpr24
                                        ; implicit-def: $vgpr21
                                        ; implicit-def: $vgpr22
                                        ; implicit-def: $vgpr23
	s_sub_i32 s33, s2, s28
.LBB0_3:
	s_waitcnt vmcnt(7)
	v_bfrev_b32_e32 v3, 1
	v_cmp_gt_u32_e32 vcc, s33, v12
	s_waitcnt vmcnt(6)
	v_mov_b32_e32 v4, v3
	s_waitcnt vmcnt(5)
	v_mov_b32_e32 v5, v3
	;; [unrolled: 2-line block ×3, first 2 shown]
	s_and_saveexec_b64 s[0:1], vcc
	s_cbranch_execz .LBB0_5
; %bb.4:
	global_load_dword v15, v[7:8], off
	v_mov_b32_e32 v16, v3
	v_mov_b32_e32 v17, v3
	;; [unrolled: 1-line block ×3, first 2 shown]
	s_waitcnt vmcnt(0)
	v_mov_b32_e32 v3, v15
	v_mov_b32_e32 v4, v16
	;; [unrolled: 1-line block ×4, first 2 shown]
.LBB0_5:
	s_or_b64 exec, exec, s[0:1]
	v_add_u32_e32 v21, 64, v12
	v_cmp_gt_u32_e64 s[0:1], s33, v21
	s_and_saveexec_b64 s[2:3], s[0:1]
	s_cbranch_execz .LBB0_7
; %bb.6:
	global_load_dword v4, v[7:8], off offset:256
.LBB0_7:
	s_or_b64 exec, exec, s[2:3]
	v_add_u32_e32 v22, 0x80, v12
	v_cmp_gt_u32_e64 s[2:3], s33, v22
	s_and_saveexec_b64 s[6:7], s[2:3]
	s_cbranch_execz .LBB0_9
; %bb.8:
	global_load_dword v5, v[7:8], off offset:512
.LBB0_9:
	;; [unrolled: 8-line block ×3, first 2 shown]
	s_or_b64 exec, exec, s[8:9]
	s_lshl_b64 s[8:9], s[28:29], 1
	s_add_u32 s8, s40, s8
	s_addc_u32 s9, s41, s9
	v_mov_b32_e32 v7, s9
	v_add_co_u32_e64 v8, s[8:9], s8, v14
	s_waitcnt vmcnt(3)
	v_addc_co_u32_e64 v10, s[8:9], 0, v7, s[8:9]
	v_add_co_u32_e64 v7, s[8:9], v8, v13
	v_addc_co_u32_e64 v8, s[8:9], 0, v10, s[8:9]
                                        ; implicit-def: $vgpr10
	s_and_saveexec_b64 s[8:9], vcc
	s_cbranch_execnz .LBB0_54
; %bb.12:
	s_or_b64 exec, exec, s[8:9]
                                        ; implicit-def: $vgpr34
	s_and_saveexec_b64 s[8:9], s[0:1]
	s_cbranch_execnz .LBB0_55
.LBB0_13:
	s_or_b64 exec, exec, s[8:9]
                                        ; implicit-def: $vgpr35
	s_and_saveexec_b64 s[0:1], s[2:3]
	s_cbranch_execnz .LBB0_56
.LBB0_14:
	s_or_b64 exec, exec, s[0:1]
                                        ; implicit-def: $vgpr36
	s_and_saveexec_b64 s[0:1], s[6:7]
	s_cbranch_execz .LBB0_16
.LBB0_15:
	global_load_ushort v36, v[7:8], off offset:384
.LBB0_16:
	s_or_b64 exec, exec, s[0:1]
	v_mov_b32_e32 v24, v12
.LBB0_17:
	s_load_dwordx2 s[36:37], s[4:5], 0x28
	s_load_dword s0, s[4:5], 0x3c
	s_mov_b32 s26, 0
	v_lshlrev_b32_e32 v17, 2, v24
	v_lshlrev_b32_e32 v18, 2, v21
	;; [unrolled: 1-line block ×3, first 2 shown]
	s_waitcnt lgkmcnt(0)
	s_lshr_b32 s1, s0, 16
	s_and_b32 s0, s0, 0xffff
	v_mad_u32_u24 v1, v2, s1, v1
	v_mad_u64_u32 v[7:8], s[0:1], v1, s0, v[0:1]
	s_waitcnt vmcnt(0)
	v_xor_b32_e32 v1, 0x7fffffff, v5
	v_xor_b32_e32 v2, 0x7fffffff, v6
	v_lshrrev_b32_e32 v5, 4, v7
	v_and_b32_e32 v13, 0xffffffc, v5
	v_and_b32_e32 v5, 15, v9
	v_cmp_eq_u32_e64 s[0:1], 0, v5
	v_cmp_lt_u32_e64 s[2:3], 1, v5
	v_cmp_lt_u32_e64 s[4:5], 3, v5
	;; [unrolled: 1-line block ×3, first 2 shown]
	v_and_b32_e32 v5, 16, v9
	v_cmp_eq_u32_e64 s[8:9], 0, v5
	v_or_b32_e32 v5, 63, v0
	v_cmp_eq_u32_e64 s[12:13], v0, v5
	v_subrev_co_u32_e64 v5, s[18:19], 1, v9
	v_and_b32_e32 v6, 64, v9
	v_cmp_lt_i32_e32 vcc, v5, v6
	v_cndmask_b32_e32 v5, v5, v9, vcc
	v_lshlrev_b32_e32 v15, 2, v5
	v_lshrrev_b32_e32 v5, 4, v0
	v_and_b32_e32 v16, 12, v5
	v_and_b32_e32 v5, 3, v9
	v_cmp_eq_u32_e64 s[22:23], 0, v5
	v_cmp_lt_u32_e64 s[24:25], 1, v5
	v_lshlrev_b32_e32 v5, 1, v24
	v_lshlrev_b32_e32 v6, 1, v21
	;; [unrolled: 1-line block ×5, first 2 shown]
	v_sub_u32_e32 v5, 0, v5
	v_sub_u32_e32 v6, 0, v6
	;; [unrolled: 1-line block ×4, first 2 shown]
	s_mov_b32 s44, s26
	s_mov_b32 s27, s26
	;; [unrolled: 1-line block ×3, first 2 shown]
	v_add_u32_e32 v22, v17, v5
	v_add_u32_e32 v23, v18, v6
	;; [unrolled: 1-line block ×4, first 2 shown]
	v_mov_b32_e32 v5, s26
	v_mov_b32_e32 v7, s44
	v_xor_b32_e32 v3, 0x7fffffff, v3
	v_xor_b32_e32 v4, 0x7fffffff, v4
	s_add_i32 s40, s37, s36
	v_lshlrev_b32_e32 v12, 2, v11
	v_cmp_lt_u32_e64 s[10:11], 31, v9
	v_cmp_gt_u32_e64 s[14:15], 4, v0
	v_cmp_lt_u32_e64 s[16:17], 63, v0
	v_cmp_eq_u32_e64 s[20:21], 0, v0
	v_mul_i32_i24_e32 v14, -12, v0
	v_add_u32_e32 v28, -4, v16
	v_mov_b32_e32 v6, s27
	v_mov_b32_e32 v8, s45
	;; [unrolled: 1-line block ×3, first 2 shown]
	s_branch .LBB0_19
.LBB0_18:                               ;   in Loop: Header=BB0_19 Depth=1
	s_andn2_b64 vcc, exec, s[26:27]
	s_mov_b32 s37, s41
	s_cbranch_vccz .LBB0_35
.LBB0_19:                               ; =>This Inner Loop Header: Depth=1
	s_min_u32 s26, s37, 8
	v_mov_b32_e32 v33, v3
	s_lshl_b32 s26, -1, s26
	v_mov_b32_e32 v31, v1
	s_not_b32 s41, s26
	v_lshrrev_b32_e32 v1, s36, v33
	v_and_b32_e32 v1, s41, v1
	v_mov_b32_e32 v30, v2
	v_and_b32_e32 v2, 1, v1
	v_mov_b32_e32 v32, v4
	v_add_co_u32_e32 v4, vcc, -1, v2
	v_mov_b32_e32 v29, v10
	v_addc_co_u32_e64 v10, s[26:27], 0, -1, vcc
	v_cmp_ne_u32_e32 vcc, 0, v2
	v_xor_b32_e32 v2, vcc_hi, v10
	v_lshlrev_b32_e32 v10, 30, v1
	v_xor_b32_e32 v4, vcc_lo, v4
	v_cmp_gt_i64_e32 vcc, 0, v[9:10]
	v_not_b32_e32 v10, v10
	v_ashrrev_i32_e32 v10, 31, v10
	v_mov_b32_e32 v27, v34
	v_and_b32_e32 v4, exec_lo, v4
	v_xor_b32_e32 v34, vcc_hi, v10
	v_xor_b32_e32 v10, vcc_lo, v10
	v_and_b32_e32 v4, v4, v10
	v_lshlrev_b32_e32 v10, 29, v1
	v_cmp_gt_i64_e32 vcc, 0, v[9:10]
	v_not_b32_e32 v10, v10
	v_and_b32_e32 v2, exec_hi, v2
	v_ashrrev_i32_e32 v10, 31, v10
	v_and_b32_e32 v2, v2, v34
	v_xor_b32_e32 v34, vcc_hi, v10
	v_xor_b32_e32 v10, vcc_lo, v10
	v_and_b32_e32 v4, v4, v10
	v_lshlrev_b32_e32 v10, 28, v1
	v_cmp_gt_i64_e32 vcc, 0, v[9:10]
	v_not_b32_e32 v10, v10
	v_ashrrev_i32_e32 v10, 31, v10
	v_and_b32_e32 v2, v2, v34
	v_xor_b32_e32 v34, vcc_hi, v10
	v_xor_b32_e32 v10, vcc_lo, v10
	v_and_b32_e32 v4, v4, v10
	v_lshlrev_b32_e32 v10, 27, v1
	v_cmp_gt_i64_e32 vcc, 0, v[9:10]
	v_not_b32_e32 v10, v10
	;; [unrolled: 8-line block ×4, first 2 shown]
	v_ashrrev_i32_e32 v10, 31, v10
	v_and_b32_e32 v2, v2, v34
	v_xor_b32_e32 v34, vcc_hi, v10
	v_xor_b32_e32 v10, vcc_lo, v10
	v_and_b32_e32 v4, v4, v10
	v_lshlrev_b32_e32 v10, 24, v1
	v_lshlrev_b32_e32 v3, 4, v1
	v_cmp_gt_i64_e32 vcc, 0, v[9:10]
	v_not_b32_e32 v1, v10
	v_ashrrev_i32_e32 v1, 31, v1
	v_xor_b32_e32 v10, vcc_hi, v1
	v_xor_b32_e32 v1, vcc_lo, v1
	v_and_b32_e32 v2, v2, v34
	v_and_b32_e32 v1, v4, v1
	;; [unrolled: 1-line block ×3, first 2 shown]
	v_mbcnt_lo_u32_b32 v4, v1, 0
	v_mbcnt_hi_u32_b32 v34, v2, v4
	v_cmp_ne_u64_e32 vcc, 0, v[1:2]
	v_cmp_eq_u32_e64 s[26:27], 0, v34
	v_mov_b32_e32 v24, v35
	v_mov_b32_e32 v21, v36
	s_and_b64 s[44:45], vcc, s[26:27]
	v_add_u32_e32 v35, v13, v3
	ds_write2_b64 v12, v[5:6], v[7:8] offset0:2 offset1:3
	s_waitcnt lgkmcnt(0)
	s_barrier
	; wave barrier
	s_and_saveexec_b64 s[26:27], s[44:45]
; %bb.20:                               ;   in Loop: Header=BB0_19 Depth=1
	v_bcnt_u32_b32 v1, v1, 0
	v_bcnt_u32_b32 v1, v2, v1
	ds_write_b32 v35, v1 offset:16
; %bb.21:                               ;   in Loop: Header=BB0_19 Depth=1
	s_or_b64 exec, exec, s[26:27]
	v_lshrrev_b32_e32 v1, s36, v32
	v_and_b32_e32 v1, s41, v1
	v_lshlrev_b32_e32 v2, 4, v1
	v_add_u32_e32 v37, v13, v2
	v_and_b32_e32 v2, 1, v1
	v_add_co_u32_e32 v3, vcc, -1, v2
	v_addc_co_u32_e64 v4, s[26:27], 0, -1, vcc
	v_cmp_ne_u32_e32 vcc, 0, v2
	v_lshlrev_b32_e32 v10, 30, v1
	v_xor_b32_e32 v2, vcc_hi, v4
	v_xor_b32_e32 v3, vcc_lo, v3
	v_cmp_gt_i64_e32 vcc, 0, v[9:10]
	v_not_b32_e32 v4, v10
	v_ashrrev_i32_e32 v4, 31, v4
	v_and_b32_e32 v2, exec_hi, v2
	v_xor_b32_e32 v10, vcc_hi, v4
	v_and_b32_e32 v3, exec_lo, v3
	v_xor_b32_e32 v4, vcc_lo, v4
	v_and_b32_e32 v2, v2, v10
	v_lshlrev_b32_e32 v10, 29, v1
	v_and_b32_e32 v3, v3, v4
	v_cmp_gt_i64_e32 vcc, 0, v[9:10]
	v_not_b32_e32 v4, v10
	v_ashrrev_i32_e32 v4, 31, v4
	v_xor_b32_e32 v10, vcc_hi, v4
	v_xor_b32_e32 v4, vcc_lo, v4
	v_and_b32_e32 v2, v2, v10
	v_lshlrev_b32_e32 v10, 28, v1
	v_and_b32_e32 v3, v3, v4
	v_cmp_gt_i64_e32 vcc, 0, v[9:10]
	v_not_b32_e32 v4, v10
	v_ashrrev_i32_e32 v4, 31, v4
	v_xor_b32_e32 v10, vcc_hi, v4
	;; [unrolled: 8-line block ×5, first 2 shown]
	v_and_b32_e32 v2, v2, v10
	v_lshlrev_b32_e32 v10, 24, v1
	v_xor_b32_e32 v4, vcc_lo, v4
	v_cmp_gt_i64_e32 vcc, 0, v[9:10]
	v_not_b32_e32 v1, v10
	v_ashrrev_i32_e32 v1, 31, v1
	v_and_b32_e32 v3, v3, v4
	v_xor_b32_e32 v4, vcc_hi, v1
	v_xor_b32_e32 v1, vcc_lo, v1
	; wave barrier
	ds_read_b32 v36, v37 offset:16
	v_and_b32_e32 v1, v3, v1
	v_and_b32_e32 v2, v2, v4
	v_mbcnt_lo_u32_b32 v3, v1, 0
	v_mbcnt_hi_u32_b32 v38, v2, v3
	v_cmp_ne_u64_e32 vcc, 0, v[1:2]
	v_cmp_eq_u32_e64 s[26:27], 0, v38
	s_and_b64 s[44:45], vcc, s[26:27]
	; wave barrier
	s_and_saveexec_b64 s[26:27], s[44:45]
	s_cbranch_execz .LBB0_23
; %bb.22:                               ;   in Loop: Header=BB0_19 Depth=1
	v_bcnt_u32_b32 v1, v1, 0
	v_bcnt_u32_b32 v1, v2, v1
	s_waitcnt lgkmcnt(0)
	v_add_u32_e32 v1, v36, v1
	ds_write_b32 v37, v1 offset:16
.LBB0_23:                               ;   in Loop: Header=BB0_19 Depth=1
	s_or_b64 exec, exec, s[26:27]
	v_lshrrev_b32_e32 v1, s36, v31
	v_and_b32_e32 v1, s41, v1
	v_lshlrev_b32_e32 v2, 4, v1
	v_add_u32_e32 v40, v13, v2
	v_and_b32_e32 v2, 1, v1
	v_add_co_u32_e32 v3, vcc, -1, v2
	v_addc_co_u32_e64 v4, s[26:27], 0, -1, vcc
	v_cmp_ne_u32_e32 vcc, 0, v2
	v_lshlrev_b32_e32 v10, 30, v1
	v_xor_b32_e32 v2, vcc_hi, v4
	v_xor_b32_e32 v3, vcc_lo, v3
	v_cmp_gt_i64_e32 vcc, 0, v[9:10]
	v_not_b32_e32 v4, v10
	v_ashrrev_i32_e32 v4, 31, v4
	v_and_b32_e32 v2, exec_hi, v2
	v_xor_b32_e32 v10, vcc_hi, v4
	v_and_b32_e32 v3, exec_lo, v3
	v_xor_b32_e32 v4, vcc_lo, v4
	v_and_b32_e32 v2, v2, v10
	v_lshlrev_b32_e32 v10, 29, v1
	v_and_b32_e32 v3, v3, v4
	v_cmp_gt_i64_e32 vcc, 0, v[9:10]
	v_not_b32_e32 v4, v10
	v_ashrrev_i32_e32 v4, 31, v4
	v_xor_b32_e32 v10, vcc_hi, v4
	v_xor_b32_e32 v4, vcc_lo, v4
	v_and_b32_e32 v2, v2, v10
	v_lshlrev_b32_e32 v10, 28, v1
	v_and_b32_e32 v3, v3, v4
	v_cmp_gt_i64_e32 vcc, 0, v[9:10]
	v_not_b32_e32 v4, v10
	v_ashrrev_i32_e32 v4, 31, v4
	v_xor_b32_e32 v10, vcc_hi, v4
	;; [unrolled: 8-line block ×5, first 2 shown]
	v_and_b32_e32 v2, v2, v10
	v_lshlrev_b32_e32 v10, 24, v1
	v_xor_b32_e32 v4, vcc_lo, v4
	v_cmp_gt_i64_e32 vcc, 0, v[9:10]
	v_not_b32_e32 v1, v10
	v_ashrrev_i32_e32 v1, 31, v1
	v_and_b32_e32 v3, v3, v4
	v_xor_b32_e32 v4, vcc_hi, v1
	v_xor_b32_e32 v1, vcc_lo, v1
	; wave barrier
	ds_read_b32 v39, v40 offset:16
	v_and_b32_e32 v1, v3, v1
	v_and_b32_e32 v2, v2, v4
	v_mbcnt_lo_u32_b32 v3, v1, 0
	v_mbcnt_hi_u32_b32 v41, v2, v3
	v_cmp_ne_u64_e32 vcc, 0, v[1:2]
	v_cmp_eq_u32_e64 s[26:27], 0, v41
	s_and_b64 s[44:45], vcc, s[26:27]
	; wave barrier
	s_and_saveexec_b64 s[26:27], s[44:45]
	s_cbranch_execz .LBB0_25
; %bb.24:                               ;   in Loop: Header=BB0_19 Depth=1
	v_bcnt_u32_b32 v1, v1, 0
	v_bcnt_u32_b32 v1, v2, v1
	s_waitcnt lgkmcnt(0)
	v_add_u32_e32 v1, v39, v1
	ds_write_b32 v40, v1 offset:16
.LBB0_25:                               ;   in Loop: Header=BB0_19 Depth=1
	s_or_b64 exec, exec, s[26:27]
	v_lshrrev_b32_e32 v1, s36, v30
	v_and_b32_e32 v1, s41, v1
	v_lshlrev_b32_e32 v2, 4, v1
	v_add_u32_e32 v43, v13, v2
	v_and_b32_e32 v2, 1, v1
	v_add_co_u32_e32 v3, vcc, -1, v2
	v_addc_co_u32_e64 v4, s[26:27], 0, -1, vcc
	v_cmp_ne_u32_e32 vcc, 0, v2
	v_lshlrev_b32_e32 v10, 30, v1
	v_xor_b32_e32 v2, vcc_hi, v4
	v_xor_b32_e32 v3, vcc_lo, v3
	v_cmp_gt_i64_e32 vcc, 0, v[9:10]
	v_not_b32_e32 v4, v10
	v_ashrrev_i32_e32 v4, 31, v4
	v_and_b32_e32 v2, exec_hi, v2
	v_xor_b32_e32 v10, vcc_hi, v4
	v_and_b32_e32 v3, exec_lo, v3
	v_xor_b32_e32 v4, vcc_lo, v4
	v_and_b32_e32 v2, v2, v10
	v_lshlrev_b32_e32 v10, 29, v1
	v_and_b32_e32 v3, v3, v4
	v_cmp_gt_i64_e32 vcc, 0, v[9:10]
	v_not_b32_e32 v4, v10
	v_ashrrev_i32_e32 v4, 31, v4
	v_xor_b32_e32 v10, vcc_hi, v4
	v_xor_b32_e32 v4, vcc_lo, v4
	v_and_b32_e32 v2, v2, v10
	v_lshlrev_b32_e32 v10, 28, v1
	v_and_b32_e32 v3, v3, v4
	v_cmp_gt_i64_e32 vcc, 0, v[9:10]
	v_not_b32_e32 v4, v10
	v_ashrrev_i32_e32 v4, 31, v4
	v_xor_b32_e32 v10, vcc_hi, v4
	;; [unrolled: 8-line block ×5, first 2 shown]
	v_and_b32_e32 v2, v2, v10
	v_lshlrev_b32_e32 v10, 24, v1
	v_xor_b32_e32 v4, vcc_lo, v4
	v_cmp_gt_i64_e32 vcc, 0, v[9:10]
	v_not_b32_e32 v1, v10
	v_ashrrev_i32_e32 v1, 31, v1
	v_and_b32_e32 v3, v3, v4
	v_xor_b32_e32 v4, vcc_hi, v1
	v_xor_b32_e32 v1, vcc_lo, v1
	; wave barrier
	ds_read_b32 v42, v43 offset:16
	v_and_b32_e32 v1, v3, v1
	v_and_b32_e32 v2, v2, v4
	v_mbcnt_lo_u32_b32 v3, v1, 0
	v_mbcnt_hi_u32_b32 v10, v2, v3
	v_cmp_ne_u64_e32 vcc, 0, v[1:2]
	v_cmp_eq_u32_e64 s[26:27], 0, v10
	s_and_b64 s[44:45], vcc, s[26:27]
	; wave barrier
	s_and_saveexec_b64 s[26:27], s[44:45]
	s_cbranch_execz .LBB0_27
; %bb.26:                               ;   in Loop: Header=BB0_19 Depth=1
	v_bcnt_u32_b32 v1, v1, 0
	v_bcnt_u32_b32 v1, v2, v1
	s_waitcnt lgkmcnt(0)
	v_add_u32_e32 v1, v42, v1
	ds_write_b32 v43, v1 offset:16
.LBB0_27:                               ;   in Loop: Header=BB0_19 Depth=1
	s_or_b64 exec, exec, s[26:27]
	; wave barrier
	s_waitcnt lgkmcnt(0)
	s_barrier
	ds_read2_b64 v[1:4], v12 offset0:2 offset1:3
	s_waitcnt lgkmcnt(0)
	v_add_u32_e32 v44, v2, v1
	v_add3_u32 v4, v44, v3, v4
	s_nop 1
	v_mov_b32_dpp v44, v4 row_shr:1 row_mask:0xf bank_mask:0xf
	v_cndmask_b32_e64 v44, v44, 0, s[0:1]
	v_add_u32_e32 v4, v44, v4
	s_nop 1
	v_mov_b32_dpp v44, v4 row_shr:2 row_mask:0xf bank_mask:0xf
	v_cndmask_b32_e64 v44, 0, v44, s[2:3]
	v_add_u32_e32 v4, v4, v44
	;; [unrolled: 4-line block ×4, first 2 shown]
	s_nop 1
	v_mov_b32_dpp v44, v4 row_bcast:15 row_mask:0xf bank_mask:0xf
	v_cndmask_b32_e64 v44, v44, 0, s[8:9]
	v_add_u32_e32 v4, v4, v44
	s_nop 1
	v_mov_b32_dpp v44, v4 row_bcast:31 row_mask:0xf bank_mask:0xf
	v_cndmask_b32_e64 v44, 0, v44, s[10:11]
	v_add_u32_e32 v4, v4, v44
	s_and_saveexec_b64 s[26:27], s[12:13]
; %bb.28:                               ;   in Loop: Header=BB0_19 Depth=1
	ds_write_b32 v16, v4
; %bb.29:                               ;   in Loop: Header=BB0_19 Depth=1
	s_or_b64 exec, exec, s[26:27]
	s_waitcnt lgkmcnt(0)
	s_barrier
	s_and_saveexec_b64 s[26:27], s[14:15]
	s_cbranch_execz .LBB0_31
; %bb.30:                               ;   in Loop: Header=BB0_19 Depth=1
	v_add_u32_e32 v44, v12, v14
	ds_read_b32 v45, v44
	s_waitcnt lgkmcnt(0)
	s_nop 0
	v_mov_b32_dpp v46, v45 row_shr:1 row_mask:0xf bank_mask:0xf
	v_cndmask_b32_e64 v46, v46, 0, s[22:23]
	v_add_u32_e32 v45, v46, v45
	s_nop 1
	v_mov_b32_dpp v46, v45 row_shr:2 row_mask:0xf bank_mask:0xf
	v_cndmask_b32_e64 v46, 0, v46, s[24:25]
	v_add_u32_e32 v45, v45, v46
	ds_write_b32 v44, v45
.LBB0_31:                               ;   in Loop: Header=BB0_19 Depth=1
	s_or_b64 exec, exec, s[26:27]
	v_mov_b32_e32 v44, 0
	s_waitcnt lgkmcnt(0)
	s_barrier
	s_and_saveexec_b64 s[26:27], s[16:17]
; %bb.32:                               ;   in Loop: Header=BB0_19 Depth=1
	ds_read_b32 v44, v28
; %bb.33:                               ;   in Loop: Header=BB0_19 Depth=1
	s_or_b64 exec, exec, s[26:27]
	s_waitcnt lgkmcnt(0)
	v_add_u32_e32 v4, v44, v4
	ds_bpermute_b32 v4, v15, v4
	s_add_i32 s36, s36, 8
	s_cmp_ge_u32 s36, s40
	s_mov_b64 s[26:27], -1
	v_readfirstlane_b32 s41, v0
	s_waitcnt lgkmcnt(0)
	v_cndmask_b32_e64 v4, v4, v44, s[18:19]
	v_cndmask_b32_e64 v44, v4, 0, s[20:21]
	v_add_u32_e32 v45, v44, v1
	v_add_u32_e32 v1, v45, v2
	;; [unrolled: 1-line block ×3, first 2 shown]
	ds_write2_b64 v12, v[44:45], v[1:2] offset0:2 offset1:3
	s_waitcnt lgkmcnt(0)
	s_barrier
	ds_read_b32 v1, v35 offset:16
	ds_read_b32 v2, v37 offset:16
	;; [unrolled: 1-line block ×4, first 2 shown]
	s_waitcnt lgkmcnt(0)
	v_add_u32_e32 v43, v1, v34
	v_add3_u32 v40, v38, v36, v2
	v_add3_u32 v38, v41, v39, v3
	v_add3_u32 v37, v10, v42, v4
	v_lshlrev_b32_e32 v44, 2, v43
	v_lshlrev_b32_e32 v42, 2, v40
	;; [unrolled: 1-line block ×4, first 2 shown]
                                        ; implicit-def: $vgpr2
                                        ; implicit-def: $vgpr1
                                        ; implicit-def: $vgpr4
                                        ; implicit-def: $vgpr3
                                        ; implicit-def: $vgpr10
                                        ; implicit-def: $vgpr34
                                        ; implicit-def: $vgpr35
                                        ; implicit-def: $vgpr36
	s_cbranch_scc1 .LBB0_18
; %bb.34:                               ;   in Loop: Header=BB0_19 Depth=1
	v_lshlrev_b32_e32 v10, 1, v43
	v_sub_u32_e32 v10, v44, v10
	s_barrier
	ds_write_b32 v44, v33
	ds_write_b32 v42, v32
	;; [unrolled: 1-line block ×4, first 2 shown]
	s_waitcnt lgkmcnt(0)
	s_barrier
	ds_read_b32 v3, v17
	ds_read_b32 v4, v18
	;; [unrolled: 1-line block ×4, first 2 shown]
	s_waitcnt lgkmcnt(0)
	s_barrier
	ds_write_b16 v10, v29
	v_lshlrev_b32_e32 v10, 1, v40
	v_sub_u32_e32 v10, v42, v10
	ds_write_b16 v10, v27
	v_lshlrev_b32_e32 v10, 1, v38
	v_sub_u32_e32 v10, v41, v10
	ds_write_b16 v10, v24
	v_lshlrev_b32_e32 v10, 1, v37
	v_sub_u32_e32 v10, v39, v10
	ds_write_b16 v10, v21
	s_waitcnt lgkmcnt(0)
	s_barrier
	ds_read_u16 v10, v22
	ds_read_u16 v34, v23
	;; [unrolled: 1-line block ×4, first 2 shown]
	s_add_i32 s41, s37, -8
	s_mov_b64 s[26:27], 0
	s_waitcnt lgkmcnt(0)
	s_barrier
	s_branch .LBB0_18
.LBB0_35:
	v_add_u32_e32 v3, v12, v14
	s_barrier
	ds_write_b32 v44, v33
	ds_write_b32 v42, v32
	;; [unrolled: 1-line block ×4, first 2 shown]
	s_waitcnt lgkmcnt(0)
	s_barrier
	ds_read2st64_b32 v[1:2], v3 offset1:4
	ds_read2st64_b32 v[13:14], v3 offset0:8 offset1:12
	v_lshlrev_b32_e32 v3, 1, v43
	v_sub_u32_e32 v3, v44, v3
	s_waitcnt lgkmcnt(0)
	s_barrier
	ds_write_b16 v3, v29
	v_lshlrev_b32_e32 v3, 1, v40
	v_sub_u32_e32 v3, v42, v3
	ds_write_b16 v3, v27
	v_lshlrev_b32_e32 v3, 1, v38
	v_sub_u32_e32 v3, v41, v3
	;; [unrolled: 3-line block ×3, first 2 shown]
	ds_write_b16 v3, v21
	v_lshlrev_b32_e32 v3, 1, v0
	s_waitcnt lgkmcnt(0)
	s_barrier
	ds_read_u16 v7, v3
	ds_read_u16 v6, v3 offset:512
	ds_read_u16 v5, v3 offset:1024
	;; [unrolled: 1-line block ×3, first 2 shown]
	s_add_u32 s0, s38, s34
	s_addc_u32 s1, s39, s35
	v_xor_b32_e32 v12, 0x7fffffff, v1
	v_xor_b32_e32 v10, 0x7fffffff, v2
	v_mov_b32_e32 v2, s1
	v_add_co_u32_e64 v1, s[0:1], s0, v11
	v_xor_b32_e32 v9, 0x7fffffff, v13
	v_xor_b32_e32 v8, 0x7fffffff, v14
	s_andn2_b64 vcc, exec, s[30:31]
	v_addc_co_u32_e64 v2, s[0:1], 0, v2, s[0:1]
	s_cbranch_vccnz .LBB0_37
; %bb.36:
	s_lshl_b64 s[0:1], s[28:29], 1
	s_add_u32 s0, s42, s0
	s_addc_u32 s1, s43, s1
	global_store_dword v[1:2], v12, off
	global_store_dword v[1:2], v10, off offset:1024
	global_store_dword v[1:2], v9, off offset:2048
	global_store_dword v[1:2], v8, off offset:3072
	s_waitcnt lgkmcnt(3)
	global_store_short v3, v7, s[0:1]
	s_waitcnt lgkmcnt(2)
	global_store_short v3, v6, s[0:1] offset:512
	s_waitcnt lgkmcnt(1)
	global_store_short v3, v5, s[0:1] offset:1024
	s_mov_b64 s[6:7], -1
	s_cbranch_execz .LBB0_38
	s_branch .LBB0_51
.LBB0_37:
	s_mov_b64 s[6:7], 0
.LBB0_38:
	v_cmp_gt_u32_e32 vcc, s33, v0
	s_and_saveexec_b64 s[0:1], vcc
	s_cbranch_execz .LBB0_40
; %bb.39:
	global_store_dword v[1:2], v12, off
.LBB0_40:
	s_or_b64 exec, exec, s[0:1]
	v_or_b32_e32 v11, 0x100, v0
	v_cmp_gt_u32_e64 s[0:1], s33, v11
	s_and_saveexec_b64 s[2:3], s[0:1]
	s_cbranch_execz .LBB0_42
; %bb.41:
	global_store_dword v[1:2], v10, off offset:1024
.LBB0_42:
	s_or_b64 exec, exec, s[2:3]
	v_or_b32_e32 v10, 0x200, v0
	v_cmp_gt_u32_e64 s[2:3], s33, v10
	s_and_saveexec_b64 s[4:5], s[2:3]
	s_cbranch_execz .LBB0_44
; %bb.43:
	global_store_dword v[1:2], v9, off offset:2048
.LBB0_44:
	;; [unrolled: 8-line block ×3, first 2 shown]
	s_or_b64 exec, exec, s[4:5]
	s_lshl_b64 s[4:5], s[28:29], 1
	s_add_u32 s4, s42, s4
	s_addc_u32 s5, s43, s5
	v_mov_b32_e32 v1, s5
	v_add_co_u32_e64 v0, s[4:5], s4, v3
	v_addc_co_u32_e64 v1, s[4:5], 0, v1, s[4:5]
	s_and_saveexec_b64 s[4:5], vcc
	s_cbranch_execnz .LBB0_57
; %bb.47:
	s_or_b64 exec, exec, s[4:5]
	s_and_saveexec_b64 s[4:5], s[0:1]
	s_cbranch_execnz .LBB0_58
.LBB0_48:
	s_or_b64 exec, exec, s[4:5]
	s_and_saveexec_b64 s[0:1], s[2:3]
	s_cbranch_execz .LBB0_50
.LBB0_49:
	s_waitcnt lgkmcnt(1)
	global_store_short v[0:1], v5, off offset:1024
.LBB0_50:
	s_or_b64 exec, exec, s[0:1]
.LBB0_51:
	s_and_saveexec_b64 s[0:1], s[6:7]
	s_cbranch_execnz .LBB0_53
; %bb.52:
	s_endpgm
.LBB0_53:
	s_lshl_b64 s[0:1], s[28:29], 1
	s_add_u32 s0, s42, s0
	s_addc_u32 s1, s43, s1
	s_waitcnt lgkmcnt(0)
	global_store_short v3, v4, s[0:1] offset:1536
	s_endpgm
.LBB0_54:
	global_load_ushort v10, v[7:8], off
	s_or_b64 exec, exec, s[8:9]
                                        ; implicit-def: $vgpr34
	s_and_saveexec_b64 s[8:9], s[0:1]
	s_cbranch_execz .LBB0_13
.LBB0_55:
	global_load_ushort v34, v[7:8], off offset:128
	s_or_b64 exec, exec, s[8:9]
                                        ; implicit-def: $vgpr35
	s_and_saveexec_b64 s[0:1], s[2:3]
	s_cbranch_execz .LBB0_14
.LBB0_56:
	global_load_ushort v35, v[7:8], off offset:256
	s_or_b64 exec, exec, s[0:1]
                                        ; implicit-def: $vgpr36
	s_and_saveexec_b64 s[0:1], s[6:7]
	s_cbranch_execnz .LBB0_15
	s_branch .LBB0_16
.LBB0_57:
	s_waitcnt lgkmcnt(3)
	global_store_short v[0:1], v7, off
	s_or_b64 exec, exec, s[4:5]
	s_and_saveexec_b64 s[4:5], s[0:1]
	s_cbranch_execz .LBB0_48
.LBB0_58:
	s_waitcnt lgkmcnt(2)
	global_store_short v[0:1], v6, off offset:512
	s_or_b64 exec, exec, s[4:5]
	s_and_saveexec_b64 s[0:1], s[2:3]
	s_cbranch_execnz .LBB0_49
	s_branch .LBB0_50
	.section	.rodata,"a",@progbits
	.p2align	6, 0x0
	.amdhsa_kernel _ZN7rocprim17ROCPRIM_304000_NS6detail28radix_sort_block_sort_kernelINS1_36wrapped_radix_sort_block_sort_configINS0_13kernel_configILj256ELj4ELj4294967295EEEiN2at4cuda3cub6detail10OpaqueTypeILi2EEEEELb1EPKiPiPKSB_PSB_NS0_19identity_decomposerEEEvT1_T2_T3_T4_jT5_jj
		.amdhsa_group_segment_fixed_size 4112
		.amdhsa_private_segment_fixed_size 0
		.amdhsa_kernarg_size 304
		.amdhsa_user_sgpr_count 6
		.amdhsa_user_sgpr_private_segment_buffer 1
		.amdhsa_user_sgpr_dispatch_ptr 0
		.amdhsa_user_sgpr_queue_ptr 0
		.amdhsa_user_sgpr_kernarg_segment_ptr 1
		.amdhsa_user_sgpr_dispatch_id 0
		.amdhsa_user_sgpr_flat_scratch_init 0
		.amdhsa_user_sgpr_private_segment_size 0
		.amdhsa_uses_dynamic_stack 0
		.amdhsa_system_sgpr_private_segment_wavefront_offset 0
		.amdhsa_system_sgpr_workgroup_id_x 1
		.amdhsa_system_sgpr_workgroup_id_y 0
		.amdhsa_system_sgpr_workgroup_id_z 0
		.amdhsa_system_sgpr_workgroup_info 0
		.amdhsa_system_vgpr_workitem_id 2
		.amdhsa_next_free_vgpr 47
		.amdhsa_next_free_sgpr 46
		.amdhsa_reserve_vcc 1
		.amdhsa_reserve_flat_scratch 0
		.amdhsa_float_round_mode_32 0
		.amdhsa_float_round_mode_16_64 0
		.amdhsa_float_denorm_mode_32 3
		.amdhsa_float_denorm_mode_16_64 3
		.amdhsa_dx10_clamp 1
		.amdhsa_ieee_mode 1
		.amdhsa_fp16_overflow 0
		.amdhsa_exception_fp_ieee_invalid_op 0
		.amdhsa_exception_fp_denorm_src 0
		.amdhsa_exception_fp_ieee_div_zero 0
		.amdhsa_exception_fp_ieee_overflow 0
		.amdhsa_exception_fp_ieee_underflow 0
		.amdhsa_exception_fp_ieee_inexact 0
		.amdhsa_exception_int_div_zero 0
	.end_amdhsa_kernel
	.section	.text._ZN7rocprim17ROCPRIM_304000_NS6detail28radix_sort_block_sort_kernelINS1_36wrapped_radix_sort_block_sort_configINS0_13kernel_configILj256ELj4ELj4294967295EEEiN2at4cuda3cub6detail10OpaqueTypeILi2EEEEELb1EPKiPiPKSB_PSB_NS0_19identity_decomposerEEEvT1_T2_T3_T4_jT5_jj,"axG",@progbits,_ZN7rocprim17ROCPRIM_304000_NS6detail28radix_sort_block_sort_kernelINS1_36wrapped_radix_sort_block_sort_configINS0_13kernel_configILj256ELj4ELj4294967295EEEiN2at4cuda3cub6detail10OpaqueTypeILi2EEEEELb1EPKiPiPKSB_PSB_NS0_19identity_decomposerEEEvT1_T2_T3_T4_jT5_jj,comdat
.Lfunc_end0:
	.size	_ZN7rocprim17ROCPRIM_304000_NS6detail28radix_sort_block_sort_kernelINS1_36wrapped_radix_sort_block_sort_configINS0_13kernel_configILj256ELj4ELj4294967295EEEiN2at4cuda3cub6detail10OpaqueTypeILi2EEEEELb1EPKiPiPKSB_PSB_NS0_19identity_decomposerEEEvT1_T2_T3_T4_jT5_jj, .Lfunc_end0-_ZN7rocprim17ROCPRIM_304000_NS6detail28radix_sort_block_sort_kernelINS1_36wrapped_radix_sort_block_sort_configINS0_13kernel_configILj256ELj4ELj4294967295EEEiN2at4cuda3cub6detail10OpaqueTypeILi2EEEEELb1EPKiPiPKSB_PSB_NS0_19identity_decomposerEEEvT1_T2_T3_T4_jT5_jj
                                        ; -- End function
	.set _ZN7rocprim17ROCPRIM_304000_NS6detail28radix_sort_block_sort_kernelINS1_36wrapped_radix_sort_block_sort_configINS0_13kernel_configILj256ELj4ELj4294967295EEEiN2at4cuda3cub6detail10OpaqueTypeILi2EEEEELb1EPKiPiPKSB_PSB_NS0_19identity_decomposerEEEvT1_T2_T3_T4_jT5_jj.num_vgpr, 47
	.set _ZN7rocprim17ROCPRIM_304000_NS6detail28radix_sort_block_sort_kernelINS1_36wrapped_radix_sort_block_sort_configINS0_13kernel_configILj256ELj4ELj4294967295EEEiN2at4cuda3cub6detail10OpaqueTypeILi2EEEEELb1EPKiPiPKSB_PSB_NS0_19identity_decomposerEEEvT1_T2_T3_T4_jT5_jj.num_agpr, 0
	.set _ZN7rocprim17ROCPRIM_304000_NS6detail28radix_sort_block_sort_kernelINS1_36wrapped_radix_sort_block_sort_configINS0_13kernel_configILj256ELj4ELj4294967295EEEiN2at4cuda3cub6detail10OpaqueTypeILi2EEEEELb1EPKiPiPKSB_PSB_NS0_19identity_decomposerEEEvT1_T2_T3_T4_jT5_jj.numbered_sgpr, 46
	.set _ZN7rocprim17ROCPRIM_304000_NS6detail28radix_sort_block_sort_kernelINS1_36wrapped_radix_sort_block_sort_configINS0_13kernel_configILj256ELj4ELj4294967295EEEiN2at4cuda3cub6detail10OpaqueTypeILi2EEEEELb1EPKiPiPKSB_PSB_NS0_19identity_decomposerEEEvT1_T2_T3_T4_jT5_jj.num_named_barrier, 0
	.set _ZN7rocprim17ROCPRIM_304000_NS6detail28radix_sort_block_sort_kernelINS1_36wrapped_radix_sort_block_sort_configINS0_13kernel_configILj256ELj4ELj4294967295EEEiN2at4cuda3cub6detail10OpaqueTypeILi2EEEEELb1EPKiPiPKSB_PSB_NS0_19identity_decomposerEEEvT1_T2_T3_T4_jT5_jj.private_seg_size, 0
	.set _ZN7rocprim17ROCPRIM_304000_NS6detail28radix_sort_block_sort_kernelINS1_36wrapped_radix_sort_block_sort_configINS0_13kernel_configILj256ELj4ELj4294967295EEEiN2at4cuda3cub6detail10OpaqueTypeILi2EEEEELb1EPKiPiPKSB_PSB_NS0_19identity_decomposerEEEvT1_T2_T3_T4_jT5_jj.uses_vcc, 1
	.set _ZN7rocprim17ROCPRIM_304000_NS6detail28radix_sort_block_sort_kernelINS1_36wrapped_radix_sort_block_sort_configINS0_13kernel_configILj256ELj4ELj4294967295EEEiN2at4cuda3cub6detail10OpaqueTypeILi2EEEEELb1EPKiPiPKSB_PSB_NS0_19identity_decomposerEEEvT1_T2_T3_T4_jT5_jj.uses_flat_scratch, 0
	.set _ZN7rocprim17ROCPRIM_304000_NS6detail28radix_sort_block_sort_kernelINS1_36wrapped_radix_sort_block_sort_configINS0_13kernel_configILj256ELj4ELj4294967295EEEiN2at4cuda3cub6detail10OpaqueTypeILi2EEEEELb1EPKiPiPKSB_PSB_NS0_19identity_decomposerEEEvT1_T2_T3_T4_jT5_jj.has_dyn_sized_stack, 0
	.set _ZN7rocprim17ROCPRIM_304000_NS6detail28radix_sort_block_sort_kernelINS1_36wrapped_radix_sort_block_sort_configINS0_13kernel_configILj256ELj4ELj4294967295EEEiN2at4cuda3cub6detail10OpaqueTypeILi2EEEEELb1EPKiPiPKSB_PSB_NS0_19identity_decomposerEEEvT1_T2_T3_T4_jT5_jj.has_recursion, 0
	.set _ZN7rocprim17ROCPRIM_304000_NS6detail28radix_sort_block_sort_kernelINS1_36wrapped_radix_sort_block_sort_configINS0_13kernel_configILj256ELj4ELj4294967295EEEiN2at4cuda3cub6detail10OpaqueTypeILi2EEEEELb1EPKiPiPKSB_PSB_NS0_19identity_decomposerEEEvT1_T2_T3_T4_jT5_jj.has_indirect_call, 0
	.section	.AMDGPU.csdata,"",@progbits
; Kernel info:
; codeLenInByte = 3816
; TotalNumSgprs: 50
; NumVgprs: 47
; ScratchSize: 0
; MemoryBound: 0
; FloatMode: 240
; IeeeMode: 1
; LDSByteSize: 4112 bytes/workgroup (compile time only)
; SGPRBlocks: 6
; VGPRBlocks: 11
; NumSGPRsForWavesPerEU: 50
; NumVGPRsForWavesPerEU: 47
; Occupancy: 5
; WaveLimiterHint : 1
; COMPUTE_PGM_RSRC2:SCRATCH_EN: 0
; COMPUTE_PGM_RSRC2:USER_SGPR: 6
; COMPUTE_PGM_RSRC2:TRAP_HANDLER: 0
; COMPUTE_PGM_RSRC2:TGID_X_EN: 1
; COMPUTE_PGM_RSRC2:TGID_Y_EN: 0
; COMPUTE_PGM_RSRC2:TGID_Z_EN: 0
; COMPUTE_PGM_RSRC2:TIDIG_COMP_CNT: 2
	.section	.text._ZN7rocprim17ROCPRIM_304000_NS6detail39device_merge_sort_compile_time_verifierINS1_36wrapped_merge_sort_block_sort_configINS1_28merge_sort_block_sort_configILj256ELj4ELNS0_20block_sort_algorithmE0EEEiN2at4cuda3cub6detail10OpaqueTypeILi2EEEEENS1_37wrapped_merge_sort_block_merge_configINS0_14default_configEiSC_EEEEvv,"axG",@progbits,_ZN7rocprim17ROCPRIM_304000_NS6detail39device_merge_sort_compile_time_verifierINS1_36wrapped_merge_sort_block_sort_configINS1_28merge_sort_block_sort_configILj256ELj4ELNS0_20block_sort_algorithmE0EEEiN2at4cuda3cub6detail10OpaqueTypeILi2EEEEENS1_37wrapped_merge_sort_block_merge_configINS0_14default_configEiSC_EEEEvv,comdat
	.protected	_ZN7rocprim17ROCPRIM_304000_NS6detail39device_merge_sort_compile_time_verifierINS1_36wrapped_merge_sort_block_sort_configINS1_28merge_sort_block_sort_configILj256ELj4ELNS0_20block_sort_algorithmE0EEEiN2at4cuda3cub6detail10OpaqueTypeILi2EEEEENS1_37wrapped_merge_sort_block_merge_configINS0_14default_configEiSC_EEEEvv ; -- Begin function _ZN7rocprim17ROCPRIM_304000_NS6detail39device_merge_sort_compile_time_verifierINS1_36wrapped_merge_sort_block_sort_configINS1_28merge_sort_block_sort_configILj256ELj4ELNS0_20block_sort_algorithmE0EEEiN2at4cuda3cub6detail10OpaqueTypeILi2EEEEENS1_37wrapped_merge_sort_block_merge_configINS0_14default_configEiSC_EEEEvv
	.globl	_ZN7rocprim17ROCPRIM_304000_NS6detail39device_merge_sort_compile_time_verifierINS1_36wrapped_merge_sort_block_sort_configINS1_28merge_sort_block_sort_configILj256ELj4ELNS0_20block_sort_algorithmE0EEEiN2at4cuda3cub6detail10OpaqueTypeILi2EEEEENS1_37wrapped_merge_sort_block_merge_configINS0_14default_configEiSC_EEEEvv
	.p2align	8
	.type	_ZN7rocprim17ROCPRIM_304000_NS6detail39device_merge_sort_compile_time_verifierINS1_36wrapped_merge_sort_block_sort_configINS1_28merge_sort_block_sort_configILj256ELj4ELNS0_20block_sort_algorithmE0EEEiN2at4cuda3cub6detail10OpaqueTypeILi2EEEEENS1_37wrapped_merge_sort_block_merge_configINS0_14default_configEiSC_EEEEvv,@function
_ZN7rocprim17ROCPRIM_304000_NS6detail39device_merge_sort_compile_time_verifierINS1_36wrapped_merge_sort_block_sort_configINS1_28merge_sort_block_sort_configILj256ELj4ELNS0_20block_sort_algorithmE0EEEiN2at4cuda3cub6detail10OpaqueTypeILi2EEEEENS1_37wrapped_merge_sort_block_merge_configINS0_14default_configEiSC_EEEEvv: ; @_ZN7rocprim17ROCPRIM_304000_NS6detail39device_merge_sort_compile_time_verifierINS1_36wrapped_merge_sort_block_sort_configINS1_28merge_sort_block_sort_configILj256ELj4ELNS0_20block_sort_algorithmE0EEEiN2at4cuda3cub6detail10OpaqueTypeILi2EEEEENS1_37wrapped_merge_sort_block_merge_configINS0_14default_configEiSC_EEEEvv
; %bb.0:
	s_endpgm
	.section	.rodata,"a",@progbits
	.p2align	6, 0x0
	.amdhsa_kernel _ZN7rocprim17ROCPRIM_304000_NS6detail39device_merge_sort_compile_time_verifierINS1_36wrapped_merge_sort_block_sort_configINS1_28merge_sort_block_sort_configILj256ELj4ELNS0_20block_sort_algorithmE0EEEiN2at4cuda3cub6detail10OpaqueTypeILi2EEEEENS1_37wrapped_merge_sort_block_merge_configINS0_14default_configEiSC_EEEEvv
		.amdhsa_group_segment_fixed_size 0
		.amdhsa_private_segment_fixed_size 0
		.amdhsa_kernarg_size 0
		.amdhsa_user_sgpr_count 4
		.amdhsa_user_sgpr_private_segment_buffer 1
		.amdhsa_user_sgpr_dispatch_ptr 0
		.amdhsa_user_sgpr_queue_ptr 0
		.amdhsa_user_sgpr_kernarg_segment_ptr 0
		.amdhsa_user_sgpr_dispatch_id 0
		.amdhsa_user_sgpr_flat_scratch_init 0
		.amdhsa_user_sgpr_private_segment_size 0
		.amdhsa_uses_dynamic_stack 0
		.amdhsa_system_sgpr_private_segment_wavefront_offset 0
		.amdhsa_system_sgpr_workgroup_id_x 1
		.amdhsa_system_sgpr_workgroup_id_y 0
		.amdhsa_system_sgpr_workgroup_id_z 0
		.amdhsa_system_sgpr_workgroup_info 0
		.amdhsa_system_vgpr_workitem_id 0
		.amdhsa_next_free_vgpr 1
		.amdhsa_next_free_sgpr 0
		.amdhsa_reserve_vcc 0
		.amdhsa_reserve_flat_scratch 0
		.amdhsa_float_round_mode_32 0
		.amdhsa_float_round_mode_16_64 0
		.amdhsa_float_denorm_mode_32 3
		.amdhsa_float_denorm_mode_16_64 3
		.amdhsa_dx10_clamp 1
		.amdhsa_ieee_mode 1
		.amdhsa_fp16_overflow 0
		.amdhsa_exception_fp_ieee_invalid_op 0
		.amdhsa_exception_fp_denorm_src 0
		.amdhsa_exception_fp_ieee_div_zero 0
		.amdhsa_exception_fp_ieee_overflow 0
		.amdhsa_exception_fp_ieee_underflow 0
		.amdhsa_exception_fp_ieee_inexact 0
		.amdhsa_exception_int_div_zero 0
	.end_amdhsa_kernel
	.section	.text._ZN7rocprim17ROCPRIM_304000_NS6detail39device_merge_sort_compile_time_verifierINS1_36wrapped_merge_sort_block_sort_configINS1_28merge_sort_block_sort_configILj256ELj4ELNS0_20block_sort_algorithmE0EEEiN2at4cuda3cub6detail10OpaqueTypeILi2EEEEENS1_37wrapped_merge_sort_block_merge_configINS0_14default_configEiSC_EEEEvv,"axG",@progbits,_ZN7rocprim17ROCPRIM_304000_NS6detail39device_merge_sort_compile_time_verifierINS1_36wrapped_merge_sort_block_sort_configINS1_28merge_sort_block_sort_configILj256ELj4ELNS0_20block_sort_algorithmE0EEEiN2at4cuda3cub6detail10OpaqueTypeILi2EEEEENS1_37wrapped_merge_sort_block_merge_configINS0_14default_configEiSC_EEEEvv,comdat
.Lfunc_end1:
	.size	_ZN7rocprim17ROCPRIM_304000_NS6detail39device_merge_sort_compile_time_verifierINS1_36wrapped_merge_sort_block_sort_configINS1_28merge_sort_block_sort_configILj256ELj4ELNS0_20block_sort_algorithmE0EEEiN2at4cuda3cub6detail10OpaqueTypeILi2EEEEENS1_37wrapped_merge_sort_block_merge_configINS0_14default_configEiSC_EEEEvv, .Lfunc_end1-_ZN7rocprim17ROCPRIM_304000_NS6detail39device_merge_sort_compile_time_verifierINS1_36wrapped_merge_sort_block_sort_configINS1_28merge_sort_block_sort_configILj256ELj4ELNS0_20block_sort_algorithmE0EEEiN2at4cuda3cub6detail10OpaqueTypeILi2EEEEENS1_37wrapped_merge_sort_block_merge_configINS0_14default_configEiSC_EEEEvv
                                        ; -- End function
	.set _ZN7rocprim17ROCPRIM_304000_NS6detail39device_merge_sort_compile_time_verifierINS1_36wrapped_merge_sort_block_sort_configINS1_28merge_sort_block_sort_configILj256ELj4ELNS0_20block_sort_algorithmE0EEEiN2at4cuda3cub6detail10OpaqueTypeILi2EEEEENS1_37wrapped_merge_sort_block_merge_configINS0_14default_configEiSC_EEEEvv.num_vgpr, 0
	.set _ZN7rocprim17ROCPRIM_304000_NS6detail39device_merge_sort_compile_time_verifierINS1_36wrapped_merge_sort_block_sort_configINS1_28merge_sort_block_sort_configILj256ELj4ELNS0_20block_sort_algorithmE0EEEiN2at4cuda3cub6detail10OpaqueTypeILi2EEEEENS1_37wrapped_merge_sort_block_merge_configINS0_14default_configEiSC_EEEEvv.num_agpr, 0
	.set _ZN7rocprim17ROCPRIM_304000_NS6detail39device_merge_sort_compile_time_verifierINS1_36wrapped_merge_sort_block_sort_configINS1_28merge_sort_block_sort_configILj256ELj4ELNS0_20block_sort_algorithmE0EEEiN2at4cuda3cub6detail10OpaqueTypeILi2EEEEENS1_37wrapped_merge_sort_block_merge_configINS0_14default_configEiSC_EEEEvv.numbered_sgpr, 0
	.set _ZN7rocprim17ROCPRIM_304000_NS6detail39device_merge_sort_compile_time_verifierINS1_36wrapped_merge_sort_block_sort_configINS1_28merge_sort_block_sort_configILj256ELj4ELNS0_20block_sort_algorithmE0EEEiN2at4cuda3cub6detail10OpaqueTypeILi2EEEEENS1_37wrapped_merge_sort_block_merge_configINS0_14default_configEiSC_EEEEvv.num_named_barrier, 0
	.set _ZN7rocprim17ROCPRIM_304000_NS6detail39device_merge_sort_compile_time_verifierINS1_36wrapped_merge_sort_block_sort_configINS1_28merge_sort_block_sort_configILj256ELj4ELNS0_20block_sort_algorithmE0EEEiN2at4cuda3cub6detail10OpaqueTypeILi2EEEEENS1_37wrapped_merge_sort_block_merge_configINS0_14default_configEiSC_EEEEvv.private_seg_size, 0
	.set _ZN7rocprim17ROCPRIM_304000_NS6detail39device_merge_sort_compile_time_verifierINS1_36wrapped_merge_sort_block_sort_configINS1_28merge_sort_block_sort_configILj256ELj4ELNS0_20block_sort_algorithmE0EEEiN2at4cuda3cub6detail10OpaqueTypeILi2EEEEENS1_37wrapped_merge_sort_block_merge_configINS0_14default_configEiSC_EEEEvv.uses_vcc, 0
	.set _ZN7rocprim17ROCPRIM_304000_NS6detail39device_merge_sort_compile_time_verifierINS1_36wrapped_merge_sort_block_sort_configINS1_28merge_sort_block_sort_configILj256ELj4ELNS0_20block_sort_algorithmE0EEEiN2at4cuda3cub6detail10OpaqueTypeILi2EEEEENS1_37wrapped_merge_sort_block_merge_configINS0_14default_configEiSC_EEEEvv.uses_flat_scratch, 0
	.set _ZN7rocprim17ROCPRIM_304000_NS6detail39device_merge_sort_compile_time_verifierINS1_36wrapped_merge_sort_block_sort_configINS1_28merge_sort_block_sort_configILj256ELj4ELNS0_20block_sort_algorithmE0EEEiN2at4cuda3cub6detail10OpaqueTypeILi2EEEEENS1_37wrapped_merge_sort_block_merge_configINS0_14default_configEiSC_EEEEvv.has_dyn_sized_stack, 0
	.set _ZN7rocprim17ROCPRIM_304000_NS6detail39device_merge_sort_compile_time_verifierINS1_36wrapped_merge_sort_block_sort_configINS1_28merge_sort_block_sort_configILj256ELj4ELNS0_20block_sort_algorithmE0EEEiN2at4cuda3cub6detail10OpaqueTypeILi2EEEEENS1_37wrapped_merge_sort_block_merge_configINS0_14default_configEiSC_EEEEvv.has_recursion, 0
	.set _ZN7rocprim17ROCPRIM_304000_NS6detail39device_merge_sort_compile_time_verifierINS1_36wrapped_merge_sort_block_sort_configINS1_28merge_sort_block_sort_configILj256ELj4ELNS0_20block_sort_algorithmE0EEEiN2at4cuda3cub6detail10OpaqueTypeILi2EEEEENS1_37wrapped_merge_sort_block_merge_configINS0_14default_configEiSC_EEEEvv.has_indirect_call, 0
	.section	.AMDGPU.csdata,"",@progbits
; Kernel info:
; codeLenInByte = 4
; TotalNumSgprs: 4
; NumVgprs: 0
; ScratchSize: 0
; MemoryBound: 0
; FloatMode: 240
; IeeeMode: 1
; LDSByteSize: 0 bytes/workgroup (compile time only)
; SGPRBlocks: 0
; VGPRBlocks: 0
; NumSGPRsForWavesPerEU: 4
; NumVGPRsForWavesPerEU: 1
; Occupancy: 10
; WaveLimiterHint : 0
; COMPUTE_PGM_RSRC2:SCRATCH_EN: 0
; COMPUTE_PGM_RSRC2:USER_SGPR: 4
; COMPUTE_PGM_RSRC2:TRAP_HANDLER: 0
; COMPUTE_PGM_RSRC2:TGID_X_EN: 1
; COMPUTE_PGM_RSRC2:TGID_Y_EN: 0
; COMPUTE_PGM_RSRC2:TGID_Z_EN: 0
; COMPUTE_PGM_RSRC2:TIDIG_COMP_CNT: 0
	.section	.text._ZN7rocprim17ROCPRIM_304000_NS6detail45device_block_merge_mergepath_partition_kernelINS1_37wrapped_merge_sort_block_merge_configINS0_14default_configEiN2at4cuda3cub6detail10OpaqueTypeILi2EEEEEPijNS1_19radix_merge_compareILb1ELb0EiNS0_19identity_decomposerEEEEEvT0_T1_jPSH_T2_SH_,"axG",@progbits,_ZN7rocprim17ROCPRIM_304000_NS6detail45device_block_merge_mergepath_partition_kernelINS1_37wrapped_merge_sort_block_merge_configINS0_14default_configEiN2at4cuda3cub6detail10OpaqueTypeILi2EEEEEPijNS1_19radix_merge_compareILb1ELb0EiNS0_19identity_decomposerEEEEEvT0_T1_jPSH_T2_SH_,comdat
	.protected	_ZN7rocprim17ROCPRIM_304000_NS6detail45device_block_merge_mergepath_partition_kernelINS1_37wrapped_merge_sort_block_merge_configINS0_14default_configEiN2at4cuda3cub6detail10OpaqueTypeILi2EEEEEPijNS1_19radix_merge_compareILb1ELb0EiNS0_19identity_decomposerEEEEEvT0_T1_jPSH_T2_SH_ ; -- Begin function _ZN7rocprim17ROCPRIM_304000_NS6detail45device_block_merge_mergepath_partition_kernelINS1_37wrapped_merge_sort_block_merge_configINS0_14default_configEiN2at4cuda3cub6detail10OpaqueTypeILi2EEEEEPijNS1_19radix_merge_compareILb1ELb0EiNS0_19identity_decomposerEEEEEvT0_T1_jPSH_T2_SH_
	.globl	_ZN7rocprim17ROCPRIM_304000_NS6detail45device_block_merge_mergepath_partition_kernelINS1_37wrapped_merge_sort_block_merge_configINS0_14default_configEiN2at4cuda3cub6detail10OpaqueTypeILi2EEEEEPijNS1_19radix_merge_compareILb1ELb0EiNS0_19identity_decomposerEEEEEvT0_T1_jPSH_T2_SH_
	.p2align	8
	.type	_ZN7rocprim17ROCPRIM_304000_NS6detail45device_block_merge_mergepath_partition_kernelINS1_37wrapped_merge_sort_block_merge_configINS0_14default_configEiN2at4cuda3cub6detail10OpaqueTypeILi2EEEEEPijNS1_19radix_merge_compareILb1ELb0EiNS0_19identity_decomposerEEEEEvT0_T1_jPSH_T2_SH_,@function
_ZN7rocprim17ROCPRIM_304000_NS6detail45device_block_merge_mergepath_partition_kernelINS1_37wrapped_merge_sort_block_merge_configINS0_14default_configEiN2at4cuda3cub6detail10OpaqueTypeILi2EEEEEPijNS1_19radix_merge_compareILb1ELb0EiNS0_19identity_decomposerEEEEEvT0_T1_jPSH_T2_SH_: ; @_ZN7rocprim17ROCPRIM_304000_NS6detail45device_block_merge_mergepath_partition_kernelINS1_37wrapped_merge_sort_block_merge_configINS0_14default_configEiN2at4cuda3cub6detail10OpaqueTypeILi2EEEEEPijNS1_19radix_merge_compareILb1ELb0EiNS0_19identity_decomposerEEEEEvT0_T1_jPSH_T2_SH_
; %bb.0:
	s_load_dwordx2 s[0:1], s[4:5], 0x8
	v_lshl_or_b32 v0, s6, 7, v0
	s_waitcnt lgkmcnt(0)
	v_cmp_gt_u32_e32 vcc, s1, v0
	s_and_saveexec_b64 s[2:3], vcc
	s_cbranch_execz .LBB2_6
; %bb.1:
	s_load_dword s1, s[4:5], 0x1c
	s_waitcnt lgkmcnt(0)
	s_lshr_b32 s2, s1, 9
	s_and_b32 s2, s2, 0x7ffffe
	s_add_i32 s3, s2, -1
	s_sub_i32 s2, 0, s2
	v_and_b32_e32 v1, s2, v0
	v_lshlrev_b32_e32 v3, 10, v1
	v_min_u32_e32 v1, s0, v3
	v_add_u32_e32 v3, s1, v3
	v_min_u32_e32 v3, s0, v3
	v_add_u32_e32 v4, s1, v3
	v_and_b32_e32 v2, s3, v0
	v_min_u32_e32 v4, s0, v4
	v_lshlrev_b32_e32 v2, 10, v2
	v_sub_u32_e32 v5, v4, v1
	v_min_u32_e32 v6, v5, v2
	v_sub_u32_e32 v2, v3, v1
	v_sub_u32_e32 v4, v4, v3
	v_sub_u32_e64 v5, v6, v4 clamp
	v_min_u32_e32 v7, v6, v2
	v_cmp_lt_u32_e32 vcc, v5, v7
	s_and_saveexec_b64 s[0:1], vcc
	s_cbranch_execz .LBB2_5
; %bb.2:
	s_load_dwordx2 s[2:3], s[4:5], 0x0
	v_mov_b32_e32 v4, 0
	v_mov_b32_e32 v2, v4
	v_lshlrev_b64 v[8:9], 2, v[1:2]
	s_waitcnt lgkmcnt(0)
	v_mov_b32_e32 v11, s3
	v_add_co_u32_e32 v2, vcc, s2, v8
	v_addc_co_u32_e32 v8, vcc, v11, v9, vcc
	v_lshlrev_b64 v[9:10], 2, v[3:4]
	v_add_co_u32_e32 v9, vcc, s2, v9
	v_addc_co_u32_e32 v10, vcc, v11, v10, vcc
	s_mov_b64 s[2:3], 0
.LBB2_3:                                ; =>This Inner Loop Header: Depth=1
	v_add_u32_e32 v3, v7, v5
	v_lshrrev_b32_e32 v3, 1, v3
	v_lshlrev_b64 v[13:14], 2, v[3:4]
	v_mov_b32_e32 v12, v4
	v_xad_u32 v11, v3, -1, v6
	v_lshlrev_b64 v[11:12], 2, v[11:12]
	v_add_co_u32_e32 v13, vcc, v2, v13
	v_addc_co_u32_e32 v14, vcc, v8, v14, vcc
	v_add_co_u32_e32 v11, vcc, v9, v11
	v_addc_co_u32_e32 v12, vcc, v10, v12, vcc
	global_load_dword v15, v[13:14], off
	global_load_dword v16, v[11:12], off
	v_add_u32_e32 v11, 1, v3
	s_waitcnt vmcnt(0)
	v_cmp_gt_i32_e32 vcc, v16, v15
	v_cndmask_b32_e32 v7, v7, v3, vcc
	v_cndmask_b32_e32 v5, v11, v5, vcc
	v_cmp_ge_u32_e32 vcc, v5, v7
	s_or_b64 s[2:3], vcc, s[2:3]
	s_andn2_b64 exec, exec, s[2:3]
	s_cbranch_execnz .LBB2_3
; %bb.4:
	s_or_b64 exec, exec, s[2:3]
.LBB2_5:
	s_or_b64 exec, exec, s[0:1]
	s_load_dwordx2 s[0:1], s[4:5], 0x10
	v_add_u32_e32 v2, v5, v1
	v_mov_b32_e32 v1, 0
	v_lshlrev_b64 v[0:1], 2, v[0:1]
	s_waitcnt lgkmcnt(0)
	v_mov_b32_e32 v3, s1
	v_add_co_u32_e32 v0, vcc, s0, v0
	v_addc_co_u32_e32 v1, vcc, v3, v1, vcc
	global_store_dword v[0:1], v2, off
.LBB2_6:
	s_endpgm
	.section	.rodata,"a",@progbits
	.p2align	6, 0x0
	.amdhsa_kernel _ZN7rocprim17ROCPRIM_304000_NS6detail45device_block_merge_mergepath_partition_kernelINS1_37wrapped_merge_sort_block_merge_configINS0_14default_configEiN2at4cuda3cub6detail10OpaqueTypeILi2EEEEEPijNS1_19radix_merge_compareILb1ELb0EiNS0_19identity_decomposerEEEEEvT0_T1_jPSH_T2_SH_
		.amdhsa_group_segment_fixed_size 0
		.amdhsa_private_segment_fixed_size 0
		.amdhsa_kernarg_size 32
		.amdhsa_user_sgpr_count 6
		.amdhsa_user_sgpr_private_segment_buffer 1
		.amdhsa_user_sgpr_dispatch_ptr 0
		.amdhsa_user_sgpr_queue_ptr 0
		.amdhsa_user_sgpr_kernarg_segment_ptr 1
		.amdhsa_user_sgpr_dispatch_id 0
		.amdhsa_user_sgpr_flat_scratch_init 0
		.amdhsa_user_sgpr_private_segment_size 0
		.amdhsa_uses_dynamic_stack 0
		.amdhsa_system_sgpr_private_segment_wavefront_offset 0
		.amdhsa_system_sgpr_workgroup_id_x 1
		.amdhsa_system_sgpr_workgroup_id_y 0
		.amdhsa_system_sgpr_workgroup_id_z 0
		.amdhsa_system_sgpr_workgroup_info 0
		.amdhsa_system_vgpr_workitem_id 0
		.amdhsa_next_free_vgpr 17
		.amdhsa_next_free_sgpr 7
		.amdhsa_reserve_vcc 1
		.amdhsa_reserve_flat_scratch 0
		.amdhsa_float_round_mode_32 0
		.amdhsa_float_round_mode_16_64 0
		.amdhsa_float_denorm_mode_32 3
		.amdhsa_float_denorm_mode_16_64 3
		.amdhsa_dx10_clamp 1
		.amdhsa_ieee_mode 1
		.amdhsa_fp16_overflow 0
		.amdhsa_exception_fp_ieee_invalid_op 0
		.amdhsa_exception_fp_denorm_src 0
		.amdhsa_exception_fp_ieee_div_zero 0
		.amdhsa_exception_fp_ieee_overflow 0
		.amdhsa_exception_fp_ieee_underflow 0
		.amdhsa_exception_fp_ieee_inexact 0
		.amdhsa_exception_int_div_zero 0
	.end_amdhsa_kernel
	.section	.text._ZN7rocprim17ROCPRIM_304000_NS6detail45device_block_merge_mergepath_partition_kernelINS1_37wrapped_merge_sort_block_merge_configINS0_14default_configEiN2at4cuda3cub6detail10OpaqueTypeILi2EEEEEPijNS1_19radix_merge_compareILb1ELb0EiNS0_19identity_decomposerEEEEEvT0_T1_jPSH_T2_SH_,"axG",@progbits,_ZN7rocprim17ROCPRIM_304000_NS6detail45device_block_merge_mergepath_partition_kernelINS1_37wrapped_merge_sort_block_merge_configINS0_14default_configEiN2at4cuda3cub6detail10OpaqueTypeILi2EEEEEPijNS1_19radix_merge_compareILb1ELb0EiNS0_19identity_decomposerEEEEEvT0_T1_jPSH_T2_SH_,comdat
.Lfunc_end2:
	.size	_ZN7rocprim17ROCPRIM_304000_NS6detail45device_block_merge_mergepath_partition_kernelINS1_37wrapped_merge_sort_block_merge_configINS0_14default_configEiN2at4cuda3cub6detail10OpaqueTypeILi2EEEEEPijNS1_19radix_merge_compareILb1ELb0EiNS0_19identity_decomposerEEEEEvT0_T1_jPSH_T2_SH_, .Lfunc_end2-_ZN7rocprim17ROCPRIM_304000_NS6detail45device_block_merge_mergepath_partition_kernelINS1_37wrapped_merge_sort_block_merge_configINS0_14default_configEiN2at4cuda3cub6detail10OpaqueTypeILi2EEEEEPijNS1_19radix_merge_compareILb1ELb0EiNS0_19identity_decomposerEEEEEvT0_T1_jPSH_T2_SH_
                                        ; -- End function
	.set _ZN7rocprim17ROCPRIM_304000_NS6detail45device_block_merge_mergepath_partition_kernelINS1_37wrapped_merge_sort_block_merge_configINS0_14default_configEiN2at4cuda3cub6detail10OpaqueTypeILi2EEEEEPijNS1_19radix_merge_compareILb1ELb0EiNS0_19identity_decomposerEEEEEvT0_T1_jPSH_T2_SH_.num_vgpr, 17
	.set _ZN7rocprim17ROCPRIM_304000_NS6detail45device_block_merge_mergepath_partition_kernelINS1_37wrapped_merge_sort_block_merge_configINS0_14default_configEiN2at4cuda3cub6detail10OpaqueTypeILi2EEEEEPijNS1_19radix_merge_compareILb1ELb0EiNS0_19identity_decomposerEEEEEvT0_T1_jPSH_T2_SH_.num_agpr, 0
	.set _ZN7rocprim17ROCPRIM_304000_NS6detail45device_block_merge_mergepath_partition_kernelINS1_37wrapped_merge_sort_block_merge_configINS0_14default_configEiN2at4cuda3cub6detail10OpaqueTypeILi2EEEEEPijNS1_19radix_merge_compareILb1ELb0EiNS0_19identity_decomposerEEEEEvT0_T1_jPSH_T2_SH_.numbered_sgpr, 7
	.set _ZN7rocprim17ROCPRIM_304000_NS6detail45device_block_merge_mergepath_partition_kernelINS1_37wrapped_merge_sort_block_merge_configINS0_14default_configEiN2at4cuda3cub6detail10OpaqueTypeILi2EEEEEPijNS1_19radix_merge_compareILb1ELb0EiNS0_19identity_decomposerEEEEEvT0_T1_jPSH_T2_SH_.num_named_barrier, 0
	.set _ZN7rocprim17ROCPRIM_304000_NS6detail45device_block_merge_mergepath_partition_kernelINS1_37wrapped_merge_sort_block_merge_configINS0_14default_configEiN2at4cuda3cub6detail10OpaqueTypeILi2EEEEEPijNS1_19radix_merge_compareILb1ELb0EiNS0_19identity_decomposerEEEEEvT0_T1_jPSH_T2_SH_.private_seg_size, 0
	.set _ZN7rocprim17ROCPRIM_304000_NS6detail45device_block_merge_mergepath_partition_kernelINS1_37wrapped_merge_sort_block_merge_configINS0_14default_configEiN2at4cuda3cub6detail10OpaqueTypeILi2EEEEEPijNS1_19radix_merge_compareILb1ELb0EiNS0_19identity_decomposerEEEEEvT0_T1_jPSH_T2_SH_.uses_vcc, 1
	.set _ZN7rocprim17ROCPRIM_304000_NS6detail45device_block_merge_mergepath_partition_kernelINS1_37wrapped_merge_sort_block_merge_configINS0_14default_configEiN2at4cuda3cub6detail10OpaqueTypeILi2EEEEEPijNS1_19radix_merge_compareILb1ELb0EiNS0_19identity_decomposerEEEEEvT0_T1_jPSH_T2_SH_.uses_flat_scratch, 0
	.set _ZN7rocprim17ROCPRIM_304000_NS6detail45device_block_merge_mergepath_partition_kernelINS1_37wrapped_merge_sort_block_merge_configINS0_14default_configEiN2at4cuda3cub6detail10OpaqueTypeILi2EEEEEPijNS1_19radix_merge_compareILb1ELb0EiNS0_19identity_decomposerEEEEEvT0_T1_jPSH_T2_SH_.has_dyn_sized_stack, 0
	.set _ZN7rocprim17ROCPRIM_304000_NS6detail45device_block_merge_mergepath_partition_kernelINS1_37wrapped_merge_sort_block_merge_configINS0_14default_configEiN2at4cuda3cub6detail10OpaqueTypeILi2EEEEEPijNS1_19radix_merge_compareILb1ELb0EiNS0_19identity_decomposerEEEEEvT0_T1_jPSH_T2_SH_.has_recursion, 0
	.set _ZN7rocprim17ROCPRIM_304000_NS6detail45device_block_merge_mergepath_partition_kernelINS1_37wrapped_merge_sort_block_merge_configINS0_14default_configEiN2at4cuda3cub6detail10OpaqueTypeILi2EEEEEPijNS1_19radix_merge_compareILb1ELb0EiNS0_19identity_decomposerEEEEEvT0_T1_jPSH_T2_SH_.has_indirect_call, 0
	.section	.AMDGPU.csdata,"",@progbits
; Kernel info:
; codeLenInByte = 364
; TotalNumSgprs: 11
; NumVgprs: 17
; ScratchSize: 0
; MemoryBound: 0
; FloatMode: 240
; IeeeMode: 1
; LDSByteSize: 0 bytes/workgroup (compile time only)
; SGPRBlocks: 1
; VGPRBlocks: 4
; NumSGPRsForWavesPerEU: 11
; NumVGPRsForWavesPerEU: 17
; Occupancy: 10
; WaveLimiterHint : 0
; COMPUTE_PGM_RSRC2:SCRATCH_EN: 0
; COMPUTE_PGM_RSRC2:USER_SGPR: 6
; COMPUTE_PGM_RSRC2:TRAP_HANDLER: 0
; COMPUTE_PGM_RSRC2:TGID_X_EN: 1
; COMPUTE_PGM_RSRC2:TGID_Y_EN: 0
; COMPUTE_PGM_RSRC2:TGID_Z_EN: 0
; COMPUTE_PGM_RSRC2:TIDIG_COMP_CNT: 0
	.section	.text._ZN7rocprim17ROCPRIM_304000_NS6detail35device_block_merge_mergepath_kernelINS1_37wrapped_merge_sort_block_merge_configINS0_14default_configEiN2at4cuda3cub6detail10OpaqueTypeILi2EEEEEPiSC_PSA_SD_jNS1_19radix_merge_compareILb1ELb0EiNS0_19identity_decomposerEEEEEvT0_T1_T2_T3_T4_SL_jT5_PKSL_NS1_7vsmem_tE,"axG",@progbits,_ZN7rocprim17ROCPRIM_304000_NS6detail35device_block_merge_mergepath_kernelINS1_37wrapped_merge_sort_block_merge_configINS0_14default_configEiN2at4cuda3cub6detail10OpaqueTypeILi2EEEEEPiSC_PSA_SD_jNS1_19radix_merge_compareILb1ELb0EiNS0_19identity_decomposerEEEEEvT0_T1_T2_T3_T4_SL_jT5_PKSL_NS1_7vsmem_tE,comdat
	.protected	_ZN7rocprim17ROCPRIM_304000_NS6detail35device_block_merge_mergepath_kernelINS1_37wrapped_merge_sort_block_merge_configINS0_14default_configEiN2at4cuda3cub6detail10OpaqueTypeILi2EEEEEPiSC_PSA_SD_jNS1_19radix_merge_compareILb1ELb0EiNS0_19identity_decomposerEEEEEvT0_T1_T2_T3_T4_SL_jT5_PKSL_NS1_7vsmem_tE ; -- Begin function _ZN7rocprim17ROCPRIM_304000_NS6detail35device_block_merge_mergepath_kernelINS1_37wrapped_merge_sort_block_merge_configINS0_14default_configEiN2at4cuda3cub6detail10OpaqueTypeILi2EEEEEPiSC_PSA_SD_jNS1_19radix_merge_compareILb1ELb0EiNS0_19identity_decomposerEEEEEvT0_T1_T2_T3_T4_SL_jT5_PKSL_NS1_7vsmem_tE
	.globl	_ZN7rocprim17ROCPRIM_304000_NS6detail35device_block_merge_mergepath_kernelINS1_37wrapped_merge_sort_block_merge_configINS0_14default_configEiN2at4cuda3cub6detail10OpaqueTypeILi2EEEEEPiSC_PSA_SD_jNS1_19radix_merge_compareILb1ELb0EiNS0_19identity_decomposerEEEEEvT0_T1_T2_T3_T4_SL_jT5_PKSL_NS1_7vsmem_tE
	.p2align	8
	.type	_ZN7rocprim17ROCPRIM_304000_NS6detail35device_block_merge_mergepath_kernelINS1_37wrapped_merge_sort_block_merge_configINS0_14default_configEiN2at4cuda3cub6detail10OpaqueTypeILi2EEEEEPiSC_PSA_SD_jNS1_19radix_merge_compareILb1ELb0EiNS0_19identity_decomposerEEEEEvT0_T1_T2_T3_T4_SL_jT5_PKSL_NS1_7vsmem_tE,@function
_ZN7rocprim17ROCPRIM_304000_NS6detail35device_block_merge_mergepath_kernelINS1_37wrapped_merge_sort_block_merge_configINS0_14default_configEiN2at4cuda3cub6detail10OpaqueTypeILi2EEEEEPiSC_PSA_SD_jNS1_19radix_merge_compareILb1ELb0EiNS0_19identity_decomposerEEEEEvT0_T1_T2_T3_T4_SL_jT5_PKSL_NS1_7vsmem_tE: ; @_ZN7rocprim17ROCPRIM_304000_NS6detail35device_block_merge_mergepath_kernelINS1_37wrapped_merge_sort_block_merge_configINS0_14default_configEiN2at4cuda3cub6detail10OpaqueTypeILi2EEEEEPiSC_PSA_SD_jNS1_19radix_merge_compareILb1ELb0EiNS0_19identity_decomposerEEEEEvT0_T1_T2_T3_T4_SL_jT5_PKSL_NS1_7vsmem_tE
; %bb.0:
	s_load_dwordx2 s[10:11], s[4:5], 0x40
	s_load_dwordx4 s[20:23], s[4:5], 0x20
	s_add_u32 s2, s4, 64
	s_addc_u32 s3, s5, 0
	s_waitcnt lgkmcnt(0)
	s_mul_i32 s0, s11, s8
	s_add_i32 s0, s0, s7
	s_mul_i32 s0, s0, s10
	s_add_i32 s0, s0, s6
	s_cmp_ge_u32 s0, s22
	s_cbranch_scc1 .LBB3_105
; %bb.1:
	s_load_dwordx8 s[12:19], s[4:5], 0x0
	s_load_dwordx2 s[8:9], s[4:5], 0x30
	s_lshr_b32 s11, s20, 10
	s_cmp_lg_u32 s0, s11
	s_mov_b32 s1, 0
	s_cselect_b64 s[24:25], -1, 0
	s_lshl_b64 s[4:5], s[0:1], 2
	s_waitcnt lgkmcnt(0)
	s_add_u32 s4, s8, s4
	s_addc_u32 s5, s9, s5
	s_load_dwordx2 s[26:27], s[4:5], 0x0
	s_lshr_b32 s4, s21, 9
	s_and_b32 s4, s4, 0x7ffffe
	s_sub_i32 s4, 0, s4
	s_and_b32 s5, s0, s4
	s_lshl_b32 s7, s5, 10
	s_lshl_b32 s22, s0, 10
	;; [unrolled: 1-line block ×3, first 2 shown]
	s_sub_i32 s8, s22, s7
	s_add_i32 s5, s5, s21
	s_add_i32 s8, s5, s8
	s_waitcnt lgkmcnt(0)
	s_sub_i32 s9, s8, s26
	s_sub_i32 s8, s8, s27
	s_sub_i32 s5, s5, s7
	s_min_u32 s28, s20, s9
	s_addk_i32 s8, 0x400
	s_or_b32 s4, s0, s4
	s_min_u32 s7, s20, s5
	s_add_i32 s5, s5, s21
	s_cmp_eq_u32 s4, -1
	s_cselect_b32 s4, s5, s8
	s_cselect_b32 s5, s7, s27
	s_min_u32 s4, s4, s20
	s_mov_b32 s27, s1
	s_sub_i32 s23, s5, s26
	s_sub_i32 s33, s4, s28
	s_lshl_b64 s[8:9], s[26:27], 2
	s_add_u32 s5, s12, s8
	s_mov_b32 s29, s1
	s_addc_u32 s7, s13, s9
	s_lshl_b64 s[8:9], s[28:29], 2
	s_add_u32 s4, s12, s8
	v_mov_b32_e32 v10, 0
	global_load_dword v1, v10, s[2:3] offset:14
	s_addc_u32 s8, s13, s9
	s_cmp_lt_u32 s6, s10
	s_cselect_b32 s1, 12, 18
	s_add_u32 s2, s2, s1
	s_addc_u32 s3, s3, 0
	global_load_ushort v2, v10, s[2:3]
	s_cmp_eq_u32 s0, s11
	v_cmp_gt_u32_e32 vcc, s23, v0
	v_lshlrev_b32_e32 v13, 2, v0
	s_waitcnt vmcnt(1)
	v_lshrrev_b32_e32 v3, 16, v1
	v_and_b32_e32 v1, 0xffff, v1
	v_mul_lo_u32 v1, v1, v3
	s_waitcnt vmcnt(0)
	v_mul_lo_u32 v11, v1, v2
	v_add_u32_e32 v9, v11, v0
	s_cbranch_scc1 .LBB3_3
; %bb.2:
	v_mov_b32_e32 v1, s7
	v_add_co_u32_e64 v3, s[0:1], s5, v13
	v_subrev_u32_e32 v2, s23, v0
	v_addc_co_u32_e64 v1, s[0:1], 0, v1, s[0:1]
	v_lshlrev_b32_e32 v2, 2, v2
	v_mov_b32_e32 v4, s8
	v_add_co_u32_e64 v5, s[0:1], s4, v2
	v_addc_co_u32_e64 v2, s[0:1], 0, v4, s[0:1]
	v_cndmask_b32_e32 v2, v2, v1, vcc
	v_cndmask_b32_e32 v1, v5, v3, vcc
	global_load_dword v1, v[1:2], off
	v_lshlrev_b64 v[2:3], 2, v[9:10]
	v_mov_b32_e32 v4, s7
	v_add_co_u32_e32 v5, vcc, s5, v2
	v_addc_co_u32_e32 v4, vcc, v4, v3, vcc
	v_subrev_co_u32_e32 v2, vcc, s23, v9
	v_mov_b32_e32 v3, v10
	v_lshlrev_b64 v[2:3], 2, v[2:3]
	v_mov_b32_e32 v6, s8
	v_add_co_u32_e64 v2, s[0:1], s4, v2
	v_addc_co_u32_e64 v3, s[0:1], v6, v3, s[0:1]
	v_cndmask_b32_e32 v3, v3, v4, vcc
	v_cndmask_b32_e32 v2, v2, v5, vcc
	v_add_u32_e32 v4, v9, v11
	v_mov_b32_e32 v5, v10
	v_lshlrev_b64 v[5:6], 2, v[4:5]
	global_load_dword v2, v[2:3], off
	v_mov_b32_e32 v3, s7
	v_add_co_u32_e32 v7, vcc, s5, v5
	v_addc_co_u32_e32 v3, vcc, v3, v6, vcc
	v_subrev_co_u32_e32 v5, vcc, s23, v4
	v_mov_b32_e32 v6, v10
	v_lshlrev_b64 v[5:6], 2, v[5:6]
	v_mov_b32_e32 v8, s8
	v_add_co_u32_e64 v5, s[0:1], s4, v5
	v_addc_co_u32_e64 v6, s[0:1], v8, v6, s[0:1]
	v_cndmask_b32_e32 v6, v6, v3, vcc
	v_cndmask_b32_e32 v5, v5, v7, vcc
	global_load_dword v3, v[5:6], off
	v_add_u32_e32 v5, v4, v11
	v_mov_b32_e32 v6, v10
	v_lshlrev_b64 v[6:7], 2, v[5:6]
	v_mov_b32_e32 v4, s7
	v_add_co_u32_e32 v8, vcc, s5, v6
	v_addc_co_u32_e32 v4, vcc, v4, v7, vcc
	v_subrev_co_u32_e32 v6, vcc, s23, v5
	v_mov_b32_e32 v7, v10
	v_lshlrev_b64 v[6:7], 2, v[6:7]
	v_mov_b32_e32 v12, s8
	v_add_co_u32_e64 v6, s[0:1], s4, v6
	v_addc_co_u32_e64 v7, s[0:1], v12, v7, s[0:1]
	v_cndmask_b32_e32 v7, v7, v4, vcc
	v_cndmask_b32_e32 v6, v6, v8, vcc
	global_load_dword v4, v[6:7], off
	v_add_u32_e32 v6, v5, v11
	v_mov_b32_e32 v7, v10
	v_lshlrev_b64 v[7:8], 2, v[6:7]
	;; [unrolled: 15-line block ×4, first 2 shown]
	v_mov_b32_e32 v12, s7
	v_add_co_u32_e32 v15, vcc, s5, v7
	v_addc_co_u32_e32 v12, vcc, v12, v8, vcc
	v_subrev_co_u32_e32 v7, vcc, s23, v14
	v_mov_b32_e32 v8, v10
	v_lshlrev_b64 v[7:8], 2, v[7:8]
	v_mov_b32_e32 v16, s8
	v_add_co_u32_e64 v7, s[0:1], s4, v7
	v_cndmask_b32_e32 v7, v7, v15, vcc
	v_add_u32_e32 v14, v14, v11
	v_mov_b32_e32 v15, v10
	v_addc_co_u32_e64 v8, s[0:1], v16, v8, s[0:1]
	v_lshlrev_b64 v[15:16], 2, v[14:15]
	v_cndmask_b32_e32 v8, v8, v12, vcc
	global_load_dword v7, v[7:8], off
	v_mov_b32_e32 v8, s7
	v_add_co_u32_e32 v12, vcc, s5, v15
	v_addc_co_u32_e32 v8, vcc, v8, v16, vcc
	v_subrev_co_u32_e32 v14, vcc, s23, v14
	v_mov_b32_e32 v15, v10
	v_lshlrev_b64 v[14:15], 2, v[14:15]
	v_mov_b32_e32 v10, s8
	v_add_co_u32_e64 v14, s[0:1], s4, v14
	v_addc_co_u32_e64 v10, s[0:1], v10, v15, s[0:1]
	v_cndmask_b32_e32 v15, v10, v8, vcc
	v_cndmask_b32_e32 v14, v14, v12, vcc
	global_load_dword v8, v[14:15], off
	s_add_i32 s21, s33, s23
	s_cbranch_execz .LBB3_4
	s_branch .LBB3_21
.LBB3_3:
                                        ; implicit-def: $vgpr1_vgpr2_vgpr3_vgpr4_vgpr5_vgpr6_vgpr7_vgpr8
                                        ; implicit-def: $sgpr21
.LBB3_4:
	s_add_i32 s21, s33, s23
	s_waitcnt vmcnt(7)
	v_mov_b32_e32 v1, 0
	v_cmp_gt_u32_e32 vcc, s21, v0
	s_waitcnt vmcnt(6)
	v_mov_b32_e32 v2, v1
	s_waitcnt vmcnt(5)
	v_mov_b32_e32 v3, v1
	;; [unrolled: 2-line block ×7, first 2 shown]
	s_and_saveexec_b64 s[0:1], vcc
	s_cbranch_execz .LBB3_6
; %bb.5:
	v_mov_b32_e32 v2, s7
	v_add_co_u32_e32 v4, vcc, s5, v13
	v_subrev_u32_e32 v3, s23, v0
	v_addc_co_u32_e32 v2, vcc, 0, v2, vcc
	v_lshlrev_b32_e32 v3, 2, v3
	v_mov_b32_e32 v5, s8
	v_add_co_u32_e32 v6, vcc, s4, v3
	v_addc_co_u32_e32 v3, vcc, 0, v5, vcc
	v_cmp_gt_u32_e32 vcc, s23, v0
	v_cndmask_b32_e32 v3, v3, v2, vcc
	v_cndmask_b32_e32 v2, v6, v4, vcc
	global_load_dword v14, v[2:3], off
	v_mov_b32_e32 v15, v1
	v_mov_b32_e32 v16, v1
	;; [unrolled: 1-line block ×7, first 2 shown]
	s_waitcnt vmcnt(0)
	v_mov_b32_e32 v1, v14
	v_mov_b32_e32 v2, v15
	;; [unrolled: 1-line block ×8, first 2 shown]
.LBB3_6:
	s_or_b64 exec, exec, s[0:1]
	v_cmp_gt_u32_e32 vcc, s21, v9
	s_and_saveexec_b64 s[2:3], vcc
	s_cbranch_execz .LBB3_8
; %bb.7:
	v_mov_b32_e32 v10, 0
	v_lshlrev_b64 v[14:15], 2, v[9:10]
	v_mov_b32_e32 v2, s7
	v_add_co_u32_e32 v12, vcc, s5, v14
	v_addc_co_u32_e32 v2, vcc, v2, v15, vcc
	v_subrev_co_u32_e32 v14, vcc, s23, v9
	v_mov_b32_e32 v15, v10
	v_lshlrev_b64 v[14:15], 2, v[14:15]
	v_mov_b32_e32 v10, s8
	v_add_co_u32_e64 v14, s[0:1], s4, v14
	v_addc_co_u32_e64 v10, s[0:1], v10, v15, s[0:1]
	v_cndmask_b32_e32 v15, v10, v2, vcc
	v_cndmask_b32_e32 v14, v14, v12, vcc
	global_load_dword v2, v[14:15], off
.LBB3_8:
	s_or_b64 exec, exec, s[2:3]
	v_add_u32_e32 v9, v9, v11
	v_cmp_gt_u32_e32 vcc, s21, v9
	s_and_saveexec_b64 s[2:3], vcc
	s_cbranch_execz .LBB3_10
; %bb.9:
	v_mov_b32_e32 v10, 0
	v_lshlrev_b64 v[14:15], 2, v[9:10]
	v_mov_b32_e32 v3, s7
	v_add_co_u32_e32 v12, vcc, s5, v14
	v_addc_co_u32_e32 v3, vcc, v3, v15, vcc
	v_subrev_co_u32_e32 v14, vcc, s23, v9
	v_mov_b32_e32 v15, v10
	v_lshlrev_b64 v[14:15], 2, v[14:15]
	v_mov_b32_e32 v10, s8
	v_add_co_u32_e64 v14, s[0:1], s4, v14
	v_addc_co_u32_e64 v10, s[0:1], v10, v15, s[0:1]
	v_cndmask_b32_e32 v15, v10, v3, vcc
	v_cndmask_b32_e32 v14, v14, v12, vcc
	global_load_dword v3, v[14:15], off
.LBB3_10:
	s_or_b64 exec, exec, s[2:3]
	v_add_u32_e32 v9, v9, v11
	;; [unrolled: 21-line block ×6, first 2 shown]
	v_cmp_gt_u32_e32 vcc, s21, v9
	s_and_saveexec_b64 s[2:3], vcc
	s_cbranch_execz .LBB3_20
; %bb.19:
	v_mov_b32_e32 v10, 0
	v_lshlrev_b64 v[11:12], 2, v[9:10]
	v_mov_b32_e32 v8, s7
	v_add_co_u32_e32 v11, vcc, s5, v11
	v_addc_co_u32_e32 v12, vcc, v8, v12, vcc
	v_subrev_co_u32_e32 v9, vcc, s23, v9
	v_lshlrev_b64 v[8:9], 2, v[9:10]
	v_mov_b32_e32 v10, s8
	v_add_co_u32_e64 v8, s[0:1], s4, v8
	v_addc_co_u32_e64 v9, s[0:1], v10, v9, s[0:1]
	v_cndmask_b32_e32 v9, v9, v12, vcc
	v_cndmask_b32_e32 v8, v8, v11, vcc
	global_load_dword v8, v[8:9], off
.LBB3_20:
	s_or_b64 exec, exec, s[2:3]
.LBB3_21:
	v_lshlrev_b32_e32 v14, 3, v0
	v_min_u32_e32 v10, s21, v14
	v_sub_u32_e64 v9, v10, s33 clamp
	v_min_u32_e32 v11, s23, v10
	v_cmp_lt_u32_e32 vcc, v9, v11
	s_waitcnt vmcnt(0)
	ds_write2st64_b32 v13, v1, v2 offset1:2
	ds_write2st64_b32 v13, v3, v4 offset0:4 offset1:6
	ds_write2st64_b32 v13, v5, v6 offset0:8 offset1:10
	;; [unrolled: 1-line block ×3, first 2 shown]
	s_waitcnt lgkmcnt(0)
	s_barrier
	s_and_saveexec_b64 s[0:1], vcc
	s_cbranch_execz .LBB3_25
; %bb.22:
	v_lshlrev_b32_e32 v12, 2, v10
	v_lshl_add_u32 v12, s23, 2, v12
	s_mov_b64 s[2:3], 0
.LBB3_23:                               ; =>This Inner Loop Header: Depth=1
	v_add_u32_e32 v15, v11, v9
	v_lshrrev_b32_e32 v15, 1, v15
	v_not_b32_e32 v16, v15
	v_lshlrev_b32_e32 v17, 2, v15
	v_lshl_add_u32 v16, v16, 2, v12
	ds_read_b32 v17, v17
	ds_read_b32 v16, v16
	v_add_u32_e32 v18, 1, v15
	s_waitcnt lgkmcnt(0)
	v_cmp_gt_i32_e32 vcc, v16, v17
	v_cndmask_b32_e32 v11, v11, v15, vcc
	v_cndmask_b32_e32 v9, v18, v9, vcc
	v_cmp_ge_u32_e32 vcc, v9, v11
	s_or_b64 s[2:3], vcc, s[2:3]
	s_andn2_b64 exec, exec, s[2:3]
	s_cbranch_execnz .LBB3_23
; %bb.24:
	s_or_b64 exec, exec, s[2:3]
.LBB3_25:
	s_or_b64 exec, exec, s[0:1]
	v_sub_u32_e32 v10, v10, v9
	v_add_u32_e32 v10, s23, v10
	v_cmp_ge_u32_e32 vcc, s23, v9
	v_cmp_ge_u32_e64 s[0:1], s21, v10
	s_or_b64 s[0:1], vcc, s[0:1]
	v_mov_b32_e32 v15, 0
	v_mov_b32_e32 v16, 0
	v_mov_b32_e32 v17, 0
	v_mov_b32_e32 v18, 0
	v_mov_b32_e32 v19, 0
	v_mov_b32_e32 v20, 0
	v_mov_b32_e32 v21, 0
	v_mov_b32_e32 v22, 0
	s_and_saveexec_b64 s[30:31], s[0:1]
	s_cbranch_execz .LBB3_31
; %bb.26:
	v_cmp_gt_u32_e32 vcc, s23, v9
                                        ; implicit-def: $vgpr1
	s_and_saveexec_b64 s[0:1], vcc
; %bb.27:
	v_lshlrev_b32_e32 v1, 2, v9
	ds_read_b32 v1, v1
; %bb.28:
	s_or_b64 exec, exec, s[0:1]
	v_cmp_le_u32_e64 s[0:1], s21, v10
	v_cmp_gt_u32_e64 s[2:3], s21, v10
                                        ; implicit-def: $vgpr2
	s_and_saveexec_b64 s[4:5], s[2:3]
; %bb.29:
	v_lshlrev_b32_e32 v2, 2, v10
	ds_read_b32 v2, v2
; %bb.30:
	s_or_b64 exec, exec, s[4:5]
	s_waitcnt lgkmcnt(0)
	v_cmp_le_i32_e64 s[2:3], v2, v1
	s_and_b64 s[2:3], vcc, s[2:3]
	s_or_b64 vcc, s[0:1], s[2:3]
	v_mov_b32_e32 v4, s21
	v_mov_b32_e32 v5, s23
	v_cndmask_b32_e32 v22, v10, v9, vcc
	v_cndmask_b32_e32 v3, v4, v5, vcc
	v_add_u32_e32 v6, 1, v22
	v_add_u32_e32 v3, -1, v3
	v_min_u32_e32 v3, v6, v3
	v_lshlrev_b32_e32 v3, 2, v3
	ds_read_b32 v3, v3
	v_cndmask_b32_e32 v8, v6, v10, vcc
	v_cndmask_b32_e32 v6, v9, v6, vcc
	v_cmp_gt_u32_e64 s[2:3], s23, v6
	v_cmp_le_u32_e64 s[0:1], s21, v8
	s_waitcnt lgkmcnt(0)
	v_cndmask_b32_e32 v7, v3, v2, vcc
	v_cndmask_b32_e32 v3, v1, v3, vcc
	v_cmp_le_i32_e64 s[4:5], v7, v3
	s_and_b64 s[2:3], s[2:3], s[4:5]
	s_or_b64 s[0:1], s[0:1], s[2:3]
	v_cndmask_b32_e64 v21, v8, v6, s[0:1]
	v_cndmask_b32_e64 v9, v4, v5, s[0:1]
	v_add_u32_e32 v10, 1, v21
	v_add_u32_e32 v9, -1, v9
	v_min_u32_e32 v9, v10, v9
	v_lshlrev_b32_e32 v9, 2, v9
	ds_read_b32 v9, v9
	v_cndmask_b32_e64 v6, v6, v10, s[0:1]
	v_cndmask_b32_e64 v8, v10, v8, s[0:1]
	v_cmp_gt_u32_e64 s[4:5], s23, v6
	v_cmp_le_u32_e64 s[2:3], s21, v8
	s_waitcnt lgkmcnt(0)
	v_cndmask_b32_e64 v11, v9, v7, s[0:1]
	v_cndmask_b32_e64 v9, v3, v9, s[0:1]
	v_cmp_le_i32_e64 s[6:7], v11, v9
	s_and_b64 s[4:5], s[4:5], s[6:7]
	s_or_b64 s[2:3], s[2:3], s[4:5]
	v_cndmask_b32_e64 v20, v8, v6, s[2:3]
	v_cndmask_b32_e64 v10, v4, v5, s[2:3]
	v_add_u32_e32 v12, 1, v20
	v_add_u32_e32 v10, -1, v10
	v_min_u32_e32 v10, v12, v10
	v_lshlrev_b32_e32 v10, 2, v10
	ds_read_b32 v10, v10
	v_cndmask_b32_e64 v6, v6, v12, s[2:3]
	v_cndmask_b32_e64 v8, v12, v8, s[2:3]
	v_cmp_gt_u32_e64 s[6:7], s23, v6
	v_cmp_le_u32_e64 s[4:5], s21, v8
	s_waitcnt lgkmcnt(0)
	v_cndmask_b32_e64 v15, v10, v11, s[2:3]
	v_cndmask_b32_e64 v10, v9, v10, s[2:3]
	;; [unrolled: 17-line block ×4, first 2 shown]
	v_cmp_le_i32_e64 s[12:13], v24, v25
	s_and_b64 s[10:11], s[10:11], s[12:13]
	s_or_b64 s[8:9], s[8:9], s[10:11]
	v_cndmask_b32_e64 v17, v8, v6, s[8:9]
	v_cndmask_b32_e64 v16, v4, v5, s[8:9]
	v_add_u32_e32 v26, 1, v17
	v_add_u32_e32 v16, -1, v16
	v_min_u32_e32 v16, v26, v16
	v_lshlrev_b32_e32 v16, 2, v16
	ds_read_b32 v16, v16
	v_cndmask_b32_e32 v1, v2, v1, vcc
	v_cndmask_b32_e64 v2, v7, v3, s[0:1]
	v_cndmask_b32_e64 v3, v11, v9, s[2:3]
	;; [unrolled: 1-line block ×3, first 2 shown]
	s_waitcnt lgkmcnt(0)
	v_cndmask_b32_e64 v9, v16, v24, s[8:9]
	v_cndmask_b32_e64 v11, v25, v16, s[8:9]
	;; [unrolled: 1-line block ×3, first 2 shown]
	v_cmp_gt_u32_e64 s[0:1], s23, v26
	v_cmp_le_i32_e64 s[2:3], v9, v11
	v_cmp_le_u32_e32 vcc, s21, v8
	s_and_b64 s[0:1], s[0:1], s[2:3]
	s_or_b64 vcc, vcc, s[0:1]
	v_cndmask_b32_e32 v16, v8, v26, vcc
	v_cndmask_b32_e32 v4, v4, v5, vcc
	v_add_u32_e32 v27, 1, v16
	v_add_u32_e32 v4, -1, v4
	v_min_u32_e32 v4, v27, v4
	v_lshlrev_b32_e32 v4, 2, v4
	ds_read_b32 v28, v4
	v_cndmask_b32_e64 v4, v15, v10, s[4:5]
	v_cndmask_b32_e32 v7, v9, v11, vcc
	v_cndmask_b32_e32 v8, v27, v8, vcc
	v_cndmask_b32_e64 v5, v23, v12, s[6:7]
	s_waitcnt lgkmcnt(0)
	v_cndmask_b32_e32 v9, v28, v9, vcc
	v_cndmask_b32_e32 v10, v11, v28, vcc
	;; [unrolled: 1-line block ×3, first 2 shown]
	v_cmp_gt_u32_e64 s[0:1], s23, v11
	v_cmp_le_i32_e64 s[2:3], v9, v10
	v_cmp_le_u32_e32 vcc, s21, v8
	s_and_b64 s[0:1], s[0:1], s[2:3]
	s_or_b64 vcc, vcc, s[0:1]
	v_cndmask_b32_e64 v6, v24, v25, s[8:9]
	v_cndmask_b32_e32 v15, v8, v11, vcc
	v_cndmask_b32_e32 v8, v9, v10, vcc
.LBB3_31:
	s_or_b64 exec, exec, s[30:31]
	s_lshl_b64 s[0:1], s[26:27], 1
	s_add_u32 s8, s16, s0
	s_addc_u32 s9, s17, s1
	s_lshl_b64 s[0:1], s[28:29], 1
	s_add_u32 s6, s16, s0
	v_cndmask_b32_e64 v9, 0, 1, s[24:25]
	s_addc_u32 s7, s17, s1
	v_cmp_gt_u32_e64 s[4:5], s23, v0
	v_cmp_le_u32_e64 s[2:3], s23, v0
	v_cmp_ne_u32_e64 s[0:1], 1, v9
	s_andn2_b64 vcc, exec, s[24:25]
	v_lshlrev_b32_e32 v12, 1, v0
	s_barrier
	s_cbranch_vccnz .LBB3_33
; %bb.32:
	v_mov_b32_e32 v9, s9
	v_add_co_u32_e32 v11, vcc, s8, v12
	v_subrev_u32_e32 v10, s23, v0
	v_addc_co_u32_e32 v9, vcc, 0, v9, vcc
	v_lshlrev_b32_e32 v10, 1, v10
	v_mov_b32_e32 v23, s7
	v_add_co_u32_e32 v24, vcc, s6, v10
	v_addc_co_u32_e32 v10, vcc, 0, v23, vcc
	v_cndmask_b32_e64 v10, v10, v9, s[4:5]
	v_cndmask_b32_e64 v9, v24, v11, s[4:5]
	global_load_ushort v11, v[9:10], off
	v_or_b32_e32 v9, 0x80, v0
	v_subrev_u32_e32 v10, s23, v9
	v_min_u32_e32 v10, v9, v10
	v_cmp_gt_u32_e32 vcc, s23, v9
	v_mov_b32_e32 v26, s6
	v_mov_b32_e32 v27, s8
	v_mov_b32_e32 v24, s7
	v_mov_b32_e32 v25, s9
	v_cndmask_b32_e32 v9, v26, v27, vcc
	v_lshlrev_b32_e32 v10, 1, v10
	v_cndmask_b32_e32 v23, v24, v25, vcc
	v_add_co_u32_e32 v9, vcc, v9, v10
	v_addc_co_u32_e32 v10, vcc, 0, v23, vcc
	global_load_ushort v23, v[9:10], off
	v_or_b32_e32 v9, 0x100, v0
	v_subrev_u32_e32 v10, s23, v9
	v_min_u32_e32 v10, v9, v10
	v_cmp_gt_u32_e32 vcc, s23, v9
	v_cndmask_b32_e32 v9, v26, v27, vcc
	v_lshlrev_b32_e32 v10, 1, v10
	v_cndmask_b32_e32 v28, v24, v25, vcc
	v_add_co_u32_e32 v9, vcc, v9, v10
	v_addc_co_u32_e32 v10, vcc, 0, v28, vcc
	global_load_ushort v28, v[9:10], off
	v_or_b32_e32 v9, 0x180, v0
	v_subrev_u32_e32 v10, s23, v9
	v_min_u32_e32 v10, v9, v10
	v_cmp_gt_u32_e32 vcc, s23, v9
	;; [unrolled: 10-line block ×5, first 2 shown]
	v_cndmask_b32_e32 v9, v26, v27, vcc
	v_lshlrev_b32_e32 v10, 1, v10
	v_cndmask_b32_e32 v32, v24, v25, vcc
	v_add_co_u32_e32 v9, vcc, v9, v10
	v_addc_co_u32_e32 v10, vcc, 0, v32, vcc
	global_load_ushort v9, v[9:10], off
	s_mov_b64 s[4:5], -1
	s_waitcnt vmcnt(6)
	ds_write_b16 v12, v11
	s_waitcnt vmcnt(5)
	ds_write_b16 v12, v23 offset:256
	s_waitcnt vmcnt(4)
	ds_write_b16 v12, v28 offset:512
	;; [unrolled: 2-line block ×6, first 2 shown]
	v_or_b32_e32 v23, 0x380, v0
	v_subrev_u32_e32 v9, s23, v23
	v_cmp_gt_u32_e32 vcc, s23, v23
	v_min_u32_e32 v11, v23, v9
	v_cndmask_b32_e32 v10, v24, v25, vcc
	v_cndmask_b32_e32 v9, v26, v27, vcc
	s_cbranch_execz .LBB3_34
	s_branch .LBB3_67
.LBB3_33:
	s_mov_b64 s[4:5], 0
                                        ; implicit-def: $vgpr23
                                        ; implicit-def: $vgpr9_vgpr10
                                        ; implicit-def: $vgpr11
.LBB3_34:
	s_and_saveexec_b64 s[4:5], s[2:3]
	s_xor_b64 s[2:3], exec, s[4:5]
	s_cbranch_execz .LBB3_38
; %bb.35:
	v_subrev_u32_e32 v9, s23, v0
	v_cmp_gt_u32_e32 vcc, s33, v9
	s_and_saveexec_b64 s[4:5], vcc
	s_cbranch_execz .LBB3_37
; %bb.36:
	v_lshlrev_b32_e32 v9, 1, v9
	global_load_ushort v9, v9, s[6:7]
	s_waitcnt vmcnt(0)
	ds_write_b16 v12, v9
.LBB3_37:
	s_or_b64 exec, exec, s[4:5]
.LBB3_38:
	s_andn2_saveexec_b64 s[2:3], s[2:3]
	s_cbranch_execz .LBB3_40
; %bb.39:
	global_load_ushort v9, v12, s[8:9]
	v_sub_u32_e32 v10, v13, v12
	s_waitcnt vmcnt(0)
	ds_write_b16 v10, v9
.LBB3_40:
	s_or_b64 exec, exec, s[2:3]
	v_or_b32_e32 v11, 0x80, v0
	v_mov_b32_e32 v9, s26
	v_cmp_le_u32_e32 vcc, s23, v11
	s_mov_b64 s[4:5], -1
	v_mov_b32_e32 v10, s27
	s_and_saveexec_b64 s[2:3], vcc
; %bb.41:
	v_subrev_u32_e32 v11, s23, v11
	v_cmp_gt_u32_e32 vcc, s33, v11
	v_mov_b32_e32 v9, s28
	v_mov_b32_e32 v10, s29
	s_orn2_b64 s[4:5], vcc, exec
; %bb.42:
	s_or_b64 exec, exec, s[2:3]
	s_and_saveexec_b64 s[2:3], s[4:5]
	s_cbranch_execz .LBB3_44
; %bb.43:
	v_lshlrev_b64 v[9:10], 1, v[9:10]
	v_mov_b32_e32 v23, s17
	v_add_co_u32_e32 v9, vcc, s16, v9
	v_addc_co_u32_e32 v10, vcc, v23, v10, vcc
	v_lshlrev_b32_e32 v11, 1, v11
	v_add_co_u32_e32 v9, vcc, v9, v11
	v_addc_co_u32_e32 v10, vcc, 0, v10, vcc
	global_load_ushort v9, v[9:10], off
	v_sub_u32_e32 v10, v13, v12
	s_waitcnt vmcnt(0)
	ds_write_b16 v10, v9 offset:256
.LBB3_44:
	s_or_b64 exec, exec, s[2:3]
	v_or_b32_e32 v11, 0x100, v0
	v_mov_b32_e32 v9, s26
	v_cmp_le_u32_e32 vcc, s23, v11
	s_mov_b64 s[4:5], -1
	v_mov_b32_e32 v10, s27
	s_and_saveexec_b64 s[2:3], vcc
; %bb.45:
	v_subrev_u32_e32 v11, s23, v11
	v_cmp_gt_u32_e32 vcc, s33, v11
	v_mov_b32_e32 v9, s28
	v_mov_b32_e32 v10, s29
	s_orn2_b64 s[4:5], vcc, exec
; %bb.46:
	s_or_b64 exec, exec, s[2:3]
	s_and_saveexec_b64 s[2:3], s[4:5]
	s_cbranch_execz .LBB3_48
; %bb.47:
	v_lshlrev_b64 v[9:10], 1, v[9:10]
	v_mov_b32_e32 v23, s17
	v_add_co_u32_e32 v9, vcc, s16, v9
	v_addc_co_u32_e32 v10, vcc, v23, v10, vcc
	v_lshlrev_b32_e32 v11, 1, v11
	v_add_co_u32_e32 v9, vcc, v9, v11
	v_addc_co_u32_e32 v10, vcc, 0, v10, vcc
	global_load_ushort v9, v[9:10], off
	v_sub_u32_e32 v10, v13, v12
	s_waitcnt vmcnt(0)
	ds_write_b16 v10, v9 offset:512
.LBB3_48:
	;; [unrolled: 30-line block ×5, first 2 shown]
	s_or_b64 exec, exec, s[2:3]
	v_or_b32_e32 v11, 0x300, v0
	v_mov_b32_e32 v9, s26
	v_cmp_le_u32_e32 vcc, s23, v11
	s_mov_b64 s[2:3], -1
	v_mov_b32_e32 v10, s27
	s_and_saveexec_b64 s[4:5], vcc
; %bb.61:
	v_subrev_u32_e32 v11, s23, v11
	v_cmp_gt_u32_e32 vcc, s33, v11
	v_mov_b32_e32 v9, s28
	v_mov_b32_e32 v10, s29
	s_orn2_b64 s[2:3], vcc, exec
; %bb.62:
	s_or_b64 exec, exec, s[4:5]
	s_and_saveexec_b64 s[4:5], s[2:3]
	s_cbranch_execz .LBB3_64
; %bb.63:
	v_lshlrev_b64 v[9:10], 1, v[9:10]
	v_mov_b32_e32 v23, s17
	v_add_co_u32_e32 v9, vcc, s16, v9
	v_addc_co_u32_e32 v10, vcc, v23, v10, vcc
	v_lshlrev_b32_e32 v11, 1, v11
	v_add_co_u32_e32 v9, vcc, v9, v11
	v_addc_co_u32_e32 v10, vcc, 0, v10, vcc
	global_load_ushort v9, v[9:10], off
	s_waitcnt vmcnt(0)
	ds_write_b16 v12, v9 offset:1536
.LBB3_64:
	s_or_b64 exec, exec, s[4:5]
	v_or_b32_e32 v23, 0x380, v0
	v_mov_b32_e32 v10, s9
	v_cmp_le_u32_e32 vcc, s23, v23
	s_mov_b64 s[4:5], -1
	v_mov_b32_e32 v9, s8
	v_mov_b32_e32 v11, v23
	s_and_saveexec_b64 s[2:3], vcc
; %bb.65:
	v_subrev_u32_e32 v11, s23, v23
	v_cmp_gt_u32_e32 vcc, s33, v11
	v_mov_b32_e32 v10, s7
	v_mov_b32_e32 v9, s6
	s_orn2_b64 s[4:5], vcc, exec
; %bb.66:
	s_or_b64 exec, exec, s[2:3]
.LBB3_67:
	s_and_saveexec_b64 s[2:3], s[4:5]
	s_cbranch_execz .LBB3_69
; %bb.68:
	v_mov_b32_e32 v12, 0
	v_lshlrev_b64 v[11:12], 1, v[11:12]
	v_add_co_u32_e32 v9, vcc, v9, v11
	v_addc_co_u32_e32 v10, vcc, v10, v12, vcc
	global_load_ushort v9, v[9:10], off
	v_lshlrev_b32_e32 v10, 1, v23
	s_waitcnt vmcnt(0)
	ds_write_b16 v10, v9
.LBB3_69:
	s_or_b64 exec, exec, s[2:3]
	s_and_b64 vcc, exec, s[0:1]
	v_add_u32_e32 v9, s22, v14
	s_waitcnt lgkmcnt(0)
	s_barrier
	s_cbranch_vccnz .LBB3_71
; %bb.70:
	v_mov_b32_e32 v10, 0
	v_lshlrev_b64 v[11:12], 1, v[9:10]
	v_mov_b32_e32 v24, s19
	v_add_co_u32_e32 v11, vcc, s18, v11
	v_lshlrev_b32_e32 v23, 1, v22
	v_addc_co_u32_e32 v12, vcc, v24, v12, vcc
	v_lshlrev_b32_e32 v24, 1, v21
	v_lshlrev_b32_e32 v25, 1, v20
	;; [unrolled: 1-line block ×6, first 2 shown]
	ds_read_u16 v23, v23
	ds_read_u16 v30, v24
	;; [unrolled: 1-line block ×7, first 2 shown]
	s_mov_b32 s0, 0x5040100
	s_waitcnt lgkmcnt(3)
	v_perm_b32 v24, v25, v24, s0
	v_perm_b32 v23, v30, v23, s0
	s_waitcnt lgkmcnt(1)
	v_perm_b32 v25, v27, v26, s0
	s_mov_b64 s[0:1], -1
	s_waitcnt lgkmcnt(0)
	global_store_short v[11:12], v28, off offset:12
	global_store_dwordx3 v[11:12], v[23:25], off
	s_cbranch_execz .LBB3_72
	s_branch .LBB3_89
.LBB3_71:
	s_mov_b64 s[0:1], 0
.LBB3_72:
	v_cmp_gt_u32_e32 vcc, s21, v14
	s_and_saveexec_b64 s[2:3], vcc
	s_cbranch_execz .LBB3_74
; %bb.73:
	v_lshlrev_b32_e32 v12, 1, v22
	v_mov_b32_e32 v10, 0
	ds_read_u16 v12, v12
	v_lshlrev_b64 v[10:11], 1, v[9:10]
	v_mov_b32_e32 v22, s19
	v_add_co_u32_e32 v10, vcc, s18, v10
	v_addc_co_u32_e32 v11, vcc, v22, v11, vcc
	s_waitcnt lgkmcnt(0)
	global_store_short v[10:11], v12, off
.LBB3_74:
	s_or_b64 exec, exec, s[2:3]
	v_or_b32_e32 v10, 1, v14
	v_cmp_gt_u32_e32 vcc, s21, v10
	s_and_saveexec_b64 s[2:3], vcc
	s_cbranch_execz .LBB3_76
; %bb.75:
	v_lshlrev_b32_e32 v12, 1, v21
	v_mov_b32_e32 v10, 0
	ds_read_u16 v12, v12
	v_lshlrev_b64 v[10:11], 1, v[9:10]
	v_mov_b32_e32 v21, s19
	v_add_co_u32_e32 v10, vcc, s18, v10
	v_addc_co_u32_e32 v11, vcc, v21, v11, vcc
	s_waitcnt lgkmcnt(0)
	global_store_short v[10:11], v12, off offset:2
.LBB3_76:
	s_or_b64 exec, exec, s[2:3]
	v_or_b32_e32 v10, 2, v14
	v_cmp_gt_u32_e32 vcc, s21, v10
	s_and_saveexec_b64 s[2:3], vcc
	s_cbranch_execz .LBB3_78
; %bb.77:
	v_lshlrev_b32_e32 v12, 1, v20
	v_mov_b32_e32 v10, 0
	ds_read_u16 v12, v12
	v_lshlrev_b64 v[10:11], 1, v[9:10]
	v_mov_b32_e32 v20, s19
	v_add_co_u32_e32 v10, vcc, s18, v10
	v_addc_co_u32_e32 v11, vcc, v20, v11, vcc
	s_waitcnt lgkmcnt(0)
	global_store_short v[10:11], v12, off offset:4
.LBB3_78:
	;; [unrolled: 16-line block ×6, first 2 shown]
	s_or_b64 exec, exec, s[2:3]
	v_or_b32_e32 v10, 7, v14
	v_cmp_gt_u32_e32 vcc, s21, v10
	s_and_saveexec_b64 s[2:3], vcc
; %bb.87:
	v_mov_b32_e32 v10, 0
	s_or_b64 s[0:1], s[0:1], exec
; %bb.88:
	s_or_b64 exec, exec, s[2:3]
.LBB3_89:
	s_and_saveexec_b64 s[2:3], s[0:1]
	s_cbranch_execz .LBB3_91
; %bb.90:
	v_lshlrev_b32_e32 v11, 1, v15
	ds_read_u16 v11, v11
	v_lshlrev_b64 v[9:10], 1, v[9:10]
	v_mov_b32_e32 v12, s19
	v_add_co_u32_e32 v9, vcc, s18, v9
	v_addc_co_u32_e32 v10, vcc, v12, v10, vcc
	s_waitcnt lgkmcnt(0)
	global_store_short v[9:10], v11, off offset:14
.LBB3_91:
	s_or_b64 exec, exec, s[2:3]
	v_and_b32_e32 v9, 0x7c, v0
	v_lshl_add_u32 v9, v14, 2, v9
	s_waitcnt vmcnt(0)
	s_barrier
	s_barrier
	ds_write2_b32 v9, v1, v2 offset1:1
	ds_write2_b32 v9, v3, v4 offset0:2 offset1:3
	ds_write2_b32 v9, v5, v6 offset0:4 offset1:5
	;; [unrolled: 1-line block ×3, first 2 shown]
	v_lshrrev_b32_e32 v1, 3, v0
	v_and_b32_e32 v1, 12, v1
	v_or_b32_e32 v10, 0x80, v0
	v_add_u32_e32 v11, v1, v13
	v_lshrrev_b32_e32 v1, 3, v10
	v_and_b32_e32 v1, 28, v1
	v_or_b32_e32 v9, 0x100, v0
	v_add_u32_e32 v12, v1, v13
	;; [unrolled: 4-line block ×5, first 2 shown]
	v_lshrrev_b32_e32 v1, 3, v5
	v_and_b32_e32 v1, 0x5c, v1
	v_or_b32_e32 v4, 0x300, v0
	s_mov_b32 s23, 0
	v_add_u32_e32 v17, v1, v13
	v_lshrrev_b32_e32 v1, 3, v4
	s_lshl_b64 s[0:1], s[22:23], 2
	v_and_b32_e32 v1, 0x6c, v1
	v_or_b32_e32 v3, 0x380, v0
	s_add_u32 s0, s14, s0
	v_add_u32_e32 v18, v1, v13
	v_lshrrev_b32_e32 v1, 3, v3
	s_addc_u32 s1, s15, s1
	v_and_b32_e32 v1, 0x7c, v1
	v_add_u32_e32 v19, v1, v13
	v_mov_b32_e32 v2, s1
	v_add_co_u32_e32 v1, vcc, s0, v13
	v_addc_co_u32_e32 v2, vcc, 0, v2, vcc
	s_and_b64 vcc, exec, s[24:25]
	s_waitcnt lgkmcnt(0)
	s_cbranch_vccz .LBB3_93
; %bb.92:
	s_barrier
	ds_read_b32 v13, v11
	ds_read_b32 v20, v12 offset:512
	ds_read_b32 v21, v14 offset:1024
	;; [unrolled: 1-line block ×7, first 2 shown]
	s_waitcnt lgkmcnt(7)
	global_store_dword v[1:2], v13, off
	s_waitcnt lgkmcnt(6)
	global_store_dword v[1:2], v20, off offset:512
	s_waitcnt lgkmcnt(5)
	global_store_dword v[1:2], v21, off offset:1024
	;; [unrolled: 2-line block ×6, first 2 shown]
	s_mov_b64 s[0:1], -1
	s_cbranch_execz .LBB3_94
	s_branch .LBB3_103
.LBB3_93:
	s_mov_b64 s[0:1], 0
                                        ; implicit-def: $vgpr7
.LBB3_94:
	s_waitcnt vmcnt(0) lgkmcnt(0)
	s_barrier
	ds_read_b32 v21, v12 offset:512
	ds_read_b32 v20, v14 offset:1024
	;; [unrolled: 1-line block ×7, first 2 shown]
	s_sub_i32 s2, s20, s22
	v_cmp_gt_u32_e32 vcc, s2, v0
	s_and_saveexec_b64 s[0:1], vcc
	s_cbranch_execnz .LBB3_106
; %bb.95:
	s_or_b64 exec, exec, s[0:1]
	v_cmp_gt_u32_e32 vcc, s2, v10
	s_and_saveexec_b64 s[0:1], vcc
	s_cbranch_execnz .LBB3_107
.LBB3_96:
	s_or_b64 exec, exec, s[0:1]
	v_cmp_gt_u32_e32 vcc, s2, v9
	s_and_saveexec_b64 s[0:1], vcc
	s_cbranch_execnz .LBB3_108
.LBB3_97:
	s_or_b64 exec, exec, s[0:1]
	v_cmp_gt_u32_e32 vcc, s2, v8
	s_and_saveexec_b64 s[0:1], vcc
	s_cbranch_execnz .LBB3_109
.LBB3_98:
	s_or_b64 exec, exec, s[0:1]
	v_cmp_gt_u32_e32 vcc, s2, v6
	s_and_saveexec_b64 s[0:1], vcc
	s_cbranch_execnz .LBB3_110
.LBB3_99:
	s_or_b64 exec, exec, s[0:1]
	v_cmp_gt_u32_e32 vcc, s2, v5
	s_and_saveexec_b64 s[0:1], vcc
	s_cbranch_execnz .LBB3_111
.LBB3_100:
	s_or_b64 exec, exec, s[0:1]
	v_cmp_gt_u32_e32 vcc, s2, v4
	s_and_saveexec_b64 s[0:1], vcc
	s_cbranch_execz .LBB3_102
.LBB3_101:
	s_waitcnt lgkmcnt(1)
	global_store_dword v[1:2], v12, off offset:3072
.LBB3_102:
	s_or_b64 exec, exec, s[0:1]
	v_cmp_gt_u32_e64 s[0:1], s2, v3
.LBB3_103:
	s_and_saveexec_b64 s[2:3], s[0:1]
	s_cbranch_execz .LBB3_105
; %bb.104:
	s_waitcnt lgkmcnt(0)
	global_store_dword v[1:2], v7, off offset:3584
.LBB3_105:
	s_endpgm
.LBB3_106:
	ds_read_b32 v0, v11
	s_waitcnt lgkmcnt(0)
	global_store_dword v[1:2], v0, off
	s_or_b64 exec, exec, s[0:1]
	v_cmp_gt_u32_e32 vcc, s2, v10
	s_and_saveexec_b64 s[0:1], vcc
	s_cbranch_execz .LBB3_96
.LBB3_107:
	s_waitcnt lgkmcnt(6)
	global_store_dword v[1:2], v21, off offset:512
	s_or_b64 exec, exec, s[0:1]
	v_cmp_gt_u32_e32 vcc, s2, v9
	s_and_saveexec_b64 s[0:1], vcc
	s_cbranch_execz .LBB3_97
.LBB3_108:
	s_waitcnt lgkmcnt(5)
	global_store_dword v[1:2], v20, off offset:1024
	s_or_b64 exec, exec, s[0:1]
	v_cmp_gt_u32_e32 vcc, s2, v8
	s_and_saveexec_b64 s[0:1], vcc
	s_cbranch_execz .LBB3_98
.LBB3_109:
	s_waitcnt lgkmcnt(4)
	global_store_dword v[1:2], v15, off offset:1536
	s_or_b64 exec, exec, s[0:1]
	v_cmp_gt_u32_e32 vcc, s2, v6
	s_and_saveexec_b64 s[0:1], vcc
	s_cbranch_execz .LBB3_99
.LBB3_110:
	s_waitcnt lgkmcnt(3)
	global_store_dword v[1:2], v14, off offset:2048
	s_or_b64 exec, exec, s[0:1]
	v_cmp_gt_u32_e32 vcc, s2, v5
	s_and_saveexec_b64 s[0:1], vcc
	s_cbranch_execz .LBB3_100
.LBB3_111:
	s_waitcnt lgkmcnt(2)
	global_store_dword v[1:2], v13, off offset:2560
	s_or_b64 exec, exec, s[0:1]
	v_cmp_gt_u32_e32 vcc, s2, v4
	s_and_saveexec_b64 s[0:1], vcc
	s_cbranch_execnz .LBB3_101
	s_branch .LBB3_102
	.section	.rodata,"a",@progbits
	.p2align	6, 0x0
	.amdhsa_kernel _ZN7rocprim17ROCPRIM_304000_NS6detail35device_block_merge_mergepath_kernelINS1_37wrapped_merge_sort_block_merge_configINS0_14default_configEiN2at4cuda3cub6detail10OpaqueTypeILi2EEEEEPiSC_PSA_SD_jNS1_19radix_merge_compareILb1ELb0EiNS0_19identity_decomposerEEEEEvT0_T1_T2_T3_T4_SL_jT5_PKSL_NS1_7vsmem_tE
		.amdhsa_group_segment_fixed_size 4224
		.amdhsa_private_segment_fixed_size 0
		.amdhsa_kernarg_size 320
		.amdhsa_user_sgpr_count 6
		.amdhsa_user_sgpr_private_segment_buffer 1
		.amdhsa_user_sgpr_dispatch_ptr 0
		.amdhsa_user_sgpr_queue_ptr 0
		.amdhsa_user_sgpr_kernarg_segment_ptr 1
		.amdhsa_user_sgpr_dispatch_id 0
		.amdhsa_user_sgpr_flat_scratch_init 0
		.amdhsa_user_sgpr_private_segment_size 0
		.amdhsa_uses_dynamic_stack 0
		.amdhsa_system_sgpr_private_segment_wavefront_offset 0
		.amdhsa_system_sgpr_workgroup_id_x 1
		.amdhsa_system_sgpr_workgroup_id_y 1
		.amdhsa_system_sgpr_workgroup_id_z 1
		.amdhsa_system_sgpr_workgroup_info 0
		.amdhsa_system_vgpr_workitem_id 0
		.amdhsa_next_free_vgpr 33
		.amdhsa_next_free_sgpr 61
		.amdhsa_reserve_vcc 1
		.amdhsa_reserve_flat_scratch 0
		.amdhsa_float_round_mode_32 0
		.amdhsa_float_round_mode_16_64 0
		.amdhsa_float_denorm_mode_32 3
		.amdhsa_float_denorm_mode_16_64 3
		.amdhsa_dx10_clamp 1
		.amdhsa_ieee_mode 1
		.amdhsa_fp16_overflow 0
		.amdhsa_exception_fp_ieee_invalid_op 0
		.amdhsa_exception_fp_denorm_src 0
		.amdhsa_exception_fp_ieee_div_zero 0
		.amdhsa_exception_fp_ieee_overflow 0
		.amdhsa_exception_fp_ieee_underflow 0
		.amdhsa_exception_fp_ieee_inexact 0
		.amdhsa_exception_int_div_zero 0
	.end_amdhsa_kernel
	.section	.text._ZN7rocprim17ROCPRIM_304000_NS6detail35device_block_merge_mergepath_kernelINS1_37wrapped_merge_sort_block_merge_configINS0_14default_configEiN2at4cuda3cub6detail10OpaqueTypeILi2EEEEEPiSC_PSA_SD_jNS1_19radix_merge_compareILb1ELb0EiNS0_19identity_decomposerEEEEEvT0_T1_T2_T3_T4_SL_jT5_PKSL_NS1_7vsmem_tE,"axG",@progbits,_ZN7rocprim17ROCPRIM_304000_NS6detail35device_block_merge_mergepath_kernelINS1_37wrapped_merge_sort_block_merge_configINS0_14default_configEiN2at4cuda3cub6detail10OpaqueTypeILi2EEEEEPiSC_PSA_SD_jNS1_19radix_merge_compareILb1ELb0EiNS0_19identity_decomposerEEEEEvT0_T1_T2_T3_T4_SL_jT5_PKSL_NS1_7vsmem_tE,comdat
.Lfunc_end3:
	.size	_ZN7rocprim17ROCPRIM_304000_NS6detail35device_block_merge_mergepath_kernelINS1_37wrapped_merge_sort_block_merge_configINS0_14default_configEiN2at4cuda3cub6detail10OpaqueTypeILi2EEEEEPiSC_PSA_SD_jNS1_19radix_merge_compareILb1ELb0EiNS0_19identity_decomposerEEEEEvT0_T1_T2_T3_T4_SL_jT5_PKSL_NS1_7vsmem_tE, .Lfunc_end3-_ZN7rocprim17ROCPRIM_304000_NS6detail35device_block_merge_mergepath_kernelINS1_37wrapped_merge_sort_block_merge_configINS0_14default_configEiN2at4cuda3cub6detail10OpaqueTypeILi2EEEEEPiSC_PSA_SD_jNS1_19radix_merge_compareILb1ELb0EiNS0_19identity_decomposerEEEEEvT0_T1_T2_T3_T4_SL_jT5_PKSL_NS1_7vsmem_tE
                                        ; -- End function
	.set _ZN7rocprim17ROCPRIM_304000_NS6detail35device_block_merge_mergepath_kernelINS1_37wrapped_merge_sort_block_merge_configINS0_14default_configEiN2at4cuda3cub6detail10OpaqueTypeILi2EEEEEPiSC_PSA_SD_jNS1_19radix_merge_compareILb1ELb0EiNS0_19identity_decomposerEEEEEvT0_T1_T2_T3_T4_SL_jT5_PKSL_NS1_7vsmem_tE.num_vgpr, 33
	.set _ZN7rocprim17ROCPRIM_304000_NS6detail35device_block_merge_mergepath_kernelINS1_37wrapped_merge_sort_block_merge_configINS0_14default_configEiN2at4cuda3cub6detail10OpaqueTypeILi2EEEEEPiSC_PSA_SD_jNS1_19radix_merge_compareILb1ELb0EiNS0_19identity_decomposerEEEEEvT0_T1_T2_T3_T4_SL_jT5_PKSL_NS1_7vsmem_tE.num_agpr, 0
	.set _ZN7rocprim17ROCPRIM_304000_NS6detail35device_block_merge_mergepath_kernelINS1_37wrapped_merge_sort_block_merge_configINS0_14default_configEiN2at4cuda3cub6detail10OpaqueTypeILi2EEEEEPiSC_PSA_SD_jNS1_19radix_merge_compareILb1ELb0EiNS0_19identity_decomposerEEEEEvT0_T1_T2_T3_T4_SL_jT5_PKSL_NS1_7vsmem_tE.numbered_sgpr, 34
	.set _ZN7rocprim17ROCPRIM_304000_NS6detail35device_block_merge_mergepath_kernelINS1_37wrapped_merge_sort_block_merge_configINS0_14default_configEiN2at4cuda3cub6detail10OpaqueTypeILi2EEEEEPiSC_PSA_SD_jNS1_19radix_merge_compareILb1ELb0EiNS0_19identity_decomposerEEEEEvT0_T1_T2_T3_T4_SL_jT5_PKSL_NS1_7vsmem_tE.num_named_barrier, 0
	.set _ZN7rocprim17ROCPRIM_304000_NS6detail35device_block_merge_mergepath_kernelINS1_37wrapped_merge_sort_block_merge_configINS0_14default_configEiN2at4cuda3cub6detail10OpaqueTypeILi2EEEEEPiSC_PSA_SD_jNS1_19radix_merge_compareILb1ELb0EiNS0_19identity_decomposerEEEEEvT0_T1_T2_T3_T4_SL_jT5_PKSL_NS1_7vsmem_tE.private_seg_size, 0
	.set _ZN7rocprim17ROCPRIM_304000_NS6detail35device_block_merge_mergepath_kernelINS1_37wrapped_merge_sort_block_merge_configINS0_14default_configEiN2at4cuda3cub6detail10OpaqueTypeILi2EEEEEPiSC_PSA_SD_jNS1_19radix_merge_compareILb1ELb0EiNS0_19identity_decomposerEEEEEvT0_T1_T2_T3_T4_SL_jT5_PKSL_NS1_7vsmem_tE.uses_vcc, 1
	.set _ZN7rocprim17ROCPRIM_304000_NS6detail35device_block_merge_mergepath_kernelINS1_37wrapped_merge_sort_block_merge_configINS0_14default_configEiN2at4cuda3cub6detail10OpaqueTypeILi2EEEEEPiSC_PSA_SD_jNS1_19radix_merge_compareILb1ELb0EiNS0_19identity_decomposerEEEEEvT0_T1_T2_T3_T4_SL_jT5_PKSL_NS1_7vsmem_tE.uses_flat_scratch, 0
	.set _ZN7rocprim17ROCPRIM_304000_NS6detail35device_block_merge_mergepath_kernelINS1_37wrapped_merge_sort_block_merge_configINS0_14default_configEiN2at4cuda3cub6detail10OpaqueTypeILi2EEEEEPiSC_PSA_SD_jNS1_19radix_merge_compareILb1ELb0EiNS0_19identity_decomposerEEEEEvT0_T1_T2_T3_T4_SL_jT5_PKSL_NS1_7vsmem_tE.has_dyn_sized_stack, 0
	.set _ZN7rocprim17ROCPRIM_304000_NS6detail35device_block_merge_mergepath_kernelINS1_37wrapped_merge_sort_block_merge_configINS0_14default_configEiN2at4cuda3cub6detail10OpaqueTypeILi2EEEEEPiSC_PSA_SD_jNS1_19radix_merge_compareILb1ELb0EiNS0_19identity_decomposerEEEEEvT0_T1_T2_T3_T4_SL_jT5_PKSL_NS1_7vsmem_tE.has_recursion, 0
	.set _ZN7rocprim17ROCPRIM_304000_NS6detail35device_block_merge_mergepath_kernelINS1_37wrapped_merge_sort_block_merge_configINS0_14default_configEiN2at4cuda3cub6detail10OpaqueTypeILi2EEEEEPiSC_PSA_SD_jNS1_19radix_merge_compareILb1ELb0EiNS0_19identity_decomposerEEEEEvT0_T1_T2_T3_T4_SL_jT5_PKSL_NS1_7vsmem_tE.has_indirect_call, 0
	.section	.AMDGPU.csdata,"",@progbits
; Kernel info:
; codeLenInByte = 5992
; TotalNumSgprs: 38
; NumVgprs: 33
; ScratchSize: 0
; MemoryBound: 0
; FloatMode: 240
; IeeeMode: 1
; LDSByteSize: 4224 bytes/workgroup (compile time only)
; SGPRBlocks: 8
; VGPRBlocks: 8
; NumSGPRsForWavesPerEU: 65
; NumVGPRsForWavesPerEU: 33
; Occupancy: 7
; WaveLimiterHint : 1
; COMPUTE_PGM_RSRC2:SCRATCH_EN: 0
; COMPUTE_PGM_RSRC2:USER_SGPR: 6
; COMPUTE_PGM_RSRC2:TRAP_HANDLER: 0
; COMPUTE_PGM_RSRC2:TGID_X_EN: 1
; COMPUTE_PGM_RSRC2:TGID_Y_EN: 1
; COMPUTE_PGM_RSRC2:TGID_Z_EN: 1
; COMPUTE_PGM_RSRC2:TIDIG_COMP_CNT: 0
	.section	.text._ZN7rocprim17ROCPRIM_304000_NS6detail33device_block_merge_oddeven_kernelINS1_37wrapped_merge_sort_block_merge_configINS0_14default_configEiN2at4cuda3cub6detail10OpaqueTypeILi2EEEEEPiSC_PSA_SD_jNS1_19radix_merge_compareILb1ELb0EiNS0_19identity_decomposerEEEEEvT0_T1_T2_T3_T4_SL_T5_,"axG",@progbits,_ZN7rocprim17ROCPRIM_304000_NS6detail33device_block_merge_oddeven_kernelINS1_37wrapped_merge_sort_block_merge_configINS0_14default_configEiN2at4cuda3cub6detail10OpaqueTypeILi2EEEEEPiSC_PSA_SD_jNS1_19radix_merge_compareILb1ELb0EiNS0_19identity_decomposerEEEEEvT0_T1_T2_T3_T4_SL_T5_,comdat
	.protected	_ZN7rocprim17ROCPRIM_304000_NS6detail33device_block_merge_oddeven_kernelINS1_37wrapped_merge_sort_block_merge_configINS0_14default_configEiN2at4cuda3cub6detail10OpaqueTypeILi2EEEEEPiSC_PSA_SD_jNS1_19radix_merge_compareILb1ELb0EiNS0_19identity_decomposerEEEEEvT0_T1_T2_T3_T4_SL_T5_ ; -- Begin function _ZN7rocprim17ROCPRIM_304000_NS6detail33device_block_merge_oddeven_kernelINS1_37wrapped_merge_sort_block_merge_configINS0_14default_configEiN2at4cuda3cub6detail10OpaqueTypeILi2EEEEEPiSC_PSA_SD_jNS1_19radix_merge_compareILb1ELb0EiNS0_19identity_decomposerEEEEEvT0_T1_T2_T3_T4_SL_T5_
	.globl	_ZN7rocprim17ROCPRIM_304000_NS6detail33device_block_merge_oddeven_kernelINS1_37wrapped_merge_sort_block_merge_configINS0_14default_configEiN2at4cuda3cub6detail10OpaqueTypeILi2EEEEEPiSC_PSA_SD_jNS1_19radix_merge_compareILb1ELb0EiNS0_19identity_decomposerEEEEEvT0_T1_T2_T3_T4_SL_T5_
	.p2align	8
	.type	_ZN7rocprim17ROCPRIM_304000_NS6detail33device_block_merge_oddeven_kernelINS1_37wrapped_merge_sort_block_merge_configINS0_14default_configEiN2at4cuda3cub6detail10OpaqueTypeILi2EEEEEPiSC_PSA_SD_jNS1_19radix_merge_compareILb1ELb0EiNS0_19identity_decomposerEEEEEvT0_T1_T2_T3_T4_SL_T5_,@function
_ZN7rocprim17ROCPRIM_304000_NS6detail33device_block_merge_oddeven_kernelINS1_37wrapped_merge_sort_block_merge_configINS0_14default_configEiN2at4cuda3cub6detail10OpaqueTypeILi2EEEEEPiSC_PSA_SD_jNS1_19radix_merge_compareILb1ELb0EiNS0_19identity_decomposerEEEEEvT0_T1_T2_T3_T4_SL_T5_: ; @_ZN7rocprim17ROCPRIM_304000_NS6detail33device_block_merge_oddeven_kernelINS1_37wrapped_merge_sort_block_merge_configINS0_14default_configEiN2at4cuda3cub6detail10OpaqueTypeILi2EEEEEPiSC_PSA_SD_jNS1_19radix_merge_compareILb1ELb0EiNS0_19identity_decomposerEEEEEvT0_T1_T2_T3_T4_SL_T5_
; %bb.0:
	s_load_dwordx2 s[18:19], s[4:5], 0x20
	s_waitcnt lgkmcnt(0)
	s_lshr_b32 s0, s18, 8
	s_cmp_eq_u32 s6, s0
	s_cselect_b64 s[16:17], -1, 0
	s_cmp_lg_u32 s6, s0
	s_cselect_b64 s[0:1], -1, 0
	s_lshl_b32 s20, s6, 8
	s_sub_i32 s2, s18, s20
	v_cmp_gt_u32_e64 s[2:3], s2, v0
	s_or_b64 s[0:1], s[0:1], s[2:3]
	s_and_saveexec_b64 s[8:9], s[0:1]
	s_cbranch_execz .LBB4_24
; %bb.1:
	s_load_dwordx8 s[8:15], s[4:5], 0x0
	s_mov_b32 s21, 0
	s_lshl_b64 s[0:1], s[20:21], 2
	v_lshlrev_b32_e32 v4, 1, v0
	v_lshlrev_b32_e32 v1, 2, v0
	s_waitcnt lgkmcnt(0)
	s_add_u32 s0, s8, s0
	s_addc_u32 s1, s9, s1
	s_lshl_b64 s[4:5], s[20:21], 1
	s_add_u32 s4, s12, s4
	s_addc_u32 s5, s13, s5
	global_load_ushort v2, v4, s[4:5]
	global_load_dword v3, v1, s[0:1]
	s_lshr_b32 s0, s19, 8
	s_sub_i32 s1, 0, s0
	s_and_b32 s1, s6, s1
	s_and_b32 s0, s1, s0
	s_lshl_b32 s13, s1, 8
	s_sub_i32 s6, 0, s19
	s_cmp_eq_u32 s0, 0
	s_cselect_b64 s[0:1], -1, 0
	s_and_b64 s[4:5], s[0:1], exec
	s_cselect_b32 s6, s19, s6
	s_add_i32 s6, s6, s13
	s_mov_b64 s[4:5], -1
	s_cmp_gt_u32 s18, s6
	v_add_u32_e32 v0, s20, v0
	s_cbranch_scc1 .LBB4_9
; %bb.2:
	s_and_b64 vcc, exec, s[16:17]
	s_cbranch_vccz .LBB4_6
; %bb.3:
	v_cmp_gt_u32_e32 vcc, s18, v0
	s_and_saveexec_b64 s[4:5], vcc
	s_cbranch_execz .LBB4_5
; %bb.4:
	v_mov_b32_e32 v1, 0
	v_lshlrev_b64 v[4:5], 1, v[0:1]
	v_mov_b32_e32 v6, s15
	v_add_co_u32_e32 v4, vcc, s14, v4
	v_addc_co_u32_e32 v5, vcc, v6, v5, vcc
	v_lshlrev_b64 v[6:7], 2, v[0:1]
	v_mov_b32_e32 v1, s11
	v_add_co_u32_e32 v6, vcc, s10, v6
	v_addc_co_u32_e32 v7, vcc, v1, v7, vcc
	s_waitcnt vmcnt(0)
	global_store_dword v[6:7], v3, off
	global_store_short v[4:5], v2, off
.LBB4_5:
	s_or_b64 exec, exec, s[4:5]
	s_mov_b64 s[4:5], 0
.LBB4_6:
	s_andn2_b64 vcc, exec, s[4:5]
	s_cbranch_vccnz .LBB4_8
; %bb.7:
	v_mov_b32_e32 v1, 0
	v_lshlrev_b64 v[4:5], 2, v[0:1]
	v_mov_b32_e32 v6, s11
	v_add_co_u32_e32 v4, vcc, s10, v4
	v_addc_co_u32_e32 v5, vcc, v6, v5, vcc
	v_lshlrev_b64 v[6:7], 1, v[0:1]
	v_mov_b32_e32 v1, s15
	v_add_co_u32_e32 v6, vcc, s14, v6
	v_addc_co_u32_e32 v7, vcc, v1, v7, vcc
	s_waitcnt vmcnt(0)
	global_store_dword v[4:5], v3, off
	global_store_short v[6:7], v2, off
.LBB4_8:
	s_mov_b64 s[4:5], 0
.LBB4_9:
	s_andn2_b64 vcc, exec, s[4:5]
	s_cbranch_vccnz .LBB4_24
; %bb.10:
	s_min_u32 s7, s6, s18
	s_add_i32 s4, s7, s19
	s_min_u32 s12, s4, s18
	s_min_u32 s4, s13, s7
	s_add_i32 s13, s13, s7
	v_subrev_u32_e32 v0, s13, v0
	v_add_u32_e32 v4, s4, v0
	s_andn2_b64 vcc, exec, s[16:17]
	s_mov_b64 s[4:5], -1
	s_cbranch_vccnz .LBB4_18
; %bb.11:
	s_and_saveexec_b64 s[4:5], s[2:3]
	s_cbranch_execz .LBB4_17
; %bb.12:
	s_cmp_ge_u32 s6, s12
	v_mov_b32_e32 v5, s7
	s_cbranch_scc1 .LBB4_16
; %bb.13:
	s_mov_b64 s[2:3], 0
	v_mov_b32_e32 v6, s12
	v_mov_b32_e32 v5, s7
	;; [unrolled: 1-line block ×4, first 2 shown]
.LBB4_14:                               ; =>This Inner Loop Header: Depth=1
	v_add_u32_e32 v0, v5, v6
	v_lshrrev_b32_e32 v0, 1, v0
	v_lshlrev_b64 v[8:9], 2, v[0:1]
	v_add_co_u32_e32 v8, vcc, s8, v8
	v_addc_co_u32_e32 v9, vcc, v7, v9, vcc
	global_load_dword v8, v[8:9], off
	v_add_u32_e32 v9, 1, v0
	s_waitcnt vmcnt(0)
	v_cmp_gt_i32_e32 vcc, v8, v3
	v_cndmask_b32_e64 v10, 0, 1, vcc
	v_cmp_le_i32_e32 vcc, v3, v8
	v_cndmask_b32_e64 v8, 0, 1, vcc
	v_cndmask_b32_e64 v8, v8, v10, s[0:1]
	v_and_b32_e32 v8, 1, v8
	v_cmp_eq_u32_e32 vcc, 1, v8
	v_cndmask_b32_e32 v6, v0, v6, vcc
	v_cndmask_b32_e32 v5, v5, v9, vcc
	v_cmp_ge_u32_e32 vcc, v5, v6
	s_or_b64 s[2:3], vcc, s[2:3]
	s_andn2_b64 exec, exec, s[2:3]
	s_cbranch_execnz .LBB4_14
; %bb.15:
	s_or_b64 exec, exec, s[2:3]
.LBB4_16:
	v_add_u32_e32 v0, v5, v4
	v_mov_b32_e32 v1, 0
	v_lshlrev_b64 v[5:6], 2, v[0:1]
	v_mov_b32_e32 v7, s11
	v_add_co_u32_e32 v5, vcc, s10, v5
	v_lshlrev_b64 v[0:1], 1, v[0:1]
	v_addc_co_u32_e32 v6, vcc, v7, v6, vcc
	s_waitcnt vmcnt(0)
	global_store_dword v[5:6], v3, off
	v_mov_b32_e32 v5, s15
	v_add_co_u32_e32 v0, vcc, s14, v0
	v_addc_co_u32_e32 v1, vcc, v5, v1, vcc
	global_store_short v[0:1], v2, off
.LBB4_17:
	s_or_b64 exec, exec, s[4:5]
	s_mov_b64 s[4:5], 0
.LBB4_18:
	s_andn2_b64 vcc, exec, s[4:5]
	s_cbranch_vccnz .LBB4_24
; %bb.19:
	s_cmp_ge_u32 s6, s12
	v_mov_b32_e32 v5, s7
	s_cbranch_scc1 .LBB4_23
; %bb.20:
	s_mov_b64 s[2:3], 0
	v_mov_b32_e32 v6, s12
	v_mov_b32_e32 v5, s7
	v_mov_b32_e32 v1, 0
	v_mov_b32_e32 v7, s9
.LBB4_21:                               ; =>This Inner Loop Header: Depth=1
	v_add_u32_e32 v0, v5, v6
	v_lshrrev_b32_e32 v0, 1, v0
	v_lshlrev_b64 v[8:9], 2, v[0:1]
	v_add_co_u32_e32 v8, vcc, s8, v8
	v_addc_co_u32_e32 v9, vcc, v7, v9, vcc
	global_load_dword v8, v[8:9], off
	v_add_u32_e32 v9, 1, v0
	s_waitcnt vmcnt(0)
	v_cmp_gt_i32_e32 vcc, v8, v3
	v_cndmask_b32_e64 v10, 0, 1, vcc
	v_cmp_le_i32_e32 vcc, v3, v8
	v_cndmask_b32_e64 v8, 0, 1, vcc
	v_cndmask_b32_e64 v8, v8, v10, s[0:1]
	v_and_b32_e32 v8, 1, v8
	v_cmp_eq_u32_e32 vcc, 1, v8
	v_cndmask_b32_e32 v6, v0, v6, vcc
	v_cndmask_b32_e32 v5, v5, v9, vcc
	v_cmp_ge_u32_e32 vcc, v5, v6
	s_or_b64 s[2:3], vcc, s[2:3]
	s_andn2_b64 exec, exec, s[2:3]
	s_cbranch_execnz .LBB4_21
; %bb.22:
	s_or_b64 exec, exec, s[2:3]
.LBB4_23:
	v_add_u32_e32 v0, v5, v4
	v_mov_b32_e32 v1, 0
	v_lshlrev_b64 v[4:5], 2, v[0:1]
	v_mov_b32_e32 v6, s11
	v_add_co_u32_e32 v4, vcc, s10, v4
	v_lshlrev_b64 v[0:1], 1, v[0:1]
	v_addc_co_u32_e32 v5, vcc, v6, v5, vcc
	s_waitcnt vmcnt(0)
	global_store_dword v[4:5], v3, off
	v_mov_b32_e32 v3, s15
	v_add_co_u32_e32 v0, vcc, s14, v0
	v_addc_co_u32_e32 v1, vcc, v3, v1, vcc
	global_store_short v[0:1], v2, off
.LBB4_24:
	s_endpgm
	.section	.rodata,"a",@progbits
	.p2align	6, 0x0
	.amdhsa_kernel _ZN7rocprim17ROCPRIM_304000_NS6detail33device_block_merge_oddeven_kernelINS1_37wrapped_merge_sort_block_merge_configINS0_14default_configEiN2at4cuda3cub6detail10OpaqueTypeILi2EEEEEPiSC_PSA_SD_jNS1_19radix_merge_compareILb1ELb0EiNS0_19identity_decomposerEEEEEvT0_T1_T2_T3_T4_SL_T5_
		.amdhsa_group_segment_fixed_size 0
		.amdhsa_private_segment_fixed_size 0
		.amdhsa_kernarg_size 44
		.amdhsa_user_sgpr_count 6
		.amdhsa_user_sgpr_private_segment_buffer 1
		.amdhsa_user_sgpr_dispatch_ptr 0
		.amdhsa_user_sgpr_queue_ptr 0
		.amdhsa_user_sgpr_kernarg_segment_ptr 1
		.amdhsa_user_sgpr_dispatch_id 0
		.amdhsa_user_sgpr_flat_scratch_init 0
		.amdhsa_user_sgpr_private_segment_size 0
		.amdhsa_uses_dynamic_stack 0
		.amdhsa_system_sgpr_private_segment_wavefront_offset 0
		.amdhsa_system_sgpr_workgroup_id_x 1
		.amdhsa_system_sgpr_workgroup_id_y 0
		.amdhsa_system_sgpr_workgroup_id_z 0
		.amdhsa_system_sgpr_workgroup_info 0
		.amdhsa_system_vgpr_workitem_id 0
		.amdhsa_next_free_vgpr 11
		.amdhsa_next_free_sgpr 22
		.amdhsa_reserve_vcc 1
		.amdhsa_reserve_flat_scratch 0
		.amdhsa_float_round_mode_32 0
		.amdhsa_float_round_mode_16_64 0
		.amdhsa_float_denorm_mode_32 3
		.amdhsa_float_denorm_mode_16_64 3
		.amdhsa_dx10_clamp 1
		.amdhsa_ieee_mode 1
		.amdhsa_fp16_overflow 0
		.amdhsa_exception_fp_ieee_invalid_op 0
		.amdhsa_exception_fp_denorm_src 0
		.amdhsa_exception_fp_ieee_div_zero 0
		.amdhsa_exception_fp_ieee_overflow 0
		.amdhsa_exception_fp_ieee_underflow 0
		.amdhsa_exception_fp_ieee_inexact 0
		.amdhsa_exception_int_div_zero 0
	.end_amdhsa_kernel
	.section	.text._ZN7rocprim17ROCPRIM_304000_NS6detail33device_block_merge_oddeven_kernelINS1_37wrapped_merge_sort_block_merge_configINS0_14default_configEiN2at4cuda3cub6detail10OpaqueTypeILi2EEEEEPiSC_PSA_SD_jNS1_19radix_merge_compareILb1ELb0EiNS0_19identity_decomposerEEEEEvT0_T1_T2_T3_T4_SL_T5_,"axG",@progbits,_ZN7rocprim17ROCPRIM_304000_NS6detail33device_block_merge_oddeven_kernelINS1_37wrapped_merge_sort_block_merge_configINS0_14default_configEiN2at4cuda3cub6detail10OpaqueTypeILi2EEEEEPiSC_PSA_SD_jNS1_19radix_merge_compareILb1ELb0EiNS0_19identity_decomposerEEEEEvT0_T1_T2_T3_T4_SL_T5_,comdat
.Lfunc_end4:
	.size	_ZN7rocprim17ROCPRIM_304000_NS6detail33device_block_merge_oddeven_kernelINS1_37wrapped_merge_sort_block_merge_configINS0_14default_configEiN2at4cuda3cub6detail10OpaqueTypeILi2EEEEEPiSC_PSA_SD_jNS1_19radix_merge_compareILb1ELb0EiNS0_19identity_decomposerEEEEEvT0_T1_T2_T3_T4_SL_T5_, .Lfunc_end4-_ZN7rocprim17ROCPRIM_304000_NS6detail33device_block_merge_oddeven_kernelINS1_37wrapped_merge_sort_block_merge_configINS0_14default_configEiN2at4cuda3cub6detail10OpaqueTypeILi2EEEEEPiSC_PSA_SD_jNS1_19radix_merge_compareILb1ELb0EiNS0_19identity_decomposerEEEEEvT0_T1_T2_T3_T4_SL_T5_
                                        ; -- End function
	.set _ZN7rocprim17ROCPRIM_304000_NS6detail33device_block_merge_oddeven_kernelINS1_37wrapped_merge_sort_block_merge_configINS0_14default_configEiN2at4cuda3cub6detail10OpaqueTypeILi2EEEEEPiSC_PSA_SD_jNS1_19radix_merge_compareILb1ELb0EiNS0_19identity_decomposerEEEEEvT0_T1_T2_T3_T4_SL_T5_.num_vgpr, 11
	.set _ZN7rocprim17ROCPRIM_304000_NS6detail33device_block_merge_oddeven_kernelINS1_37wrapped_merge_sort_block_merge_configINS0_14default_configEiN2at4cuda3cub6detail10OpaqueTypeILi2EEEEEPiSC_PSA_SD_jNS1_19radix_merge_compareILb1ELb0EiNS0_19identity_decomposerEEEEEvT0_T1_T2_T3_T4_SL_T5_.num_agpr, 0
	.set _ZN7rocprim17ROCPRIM_304000_NS6detail33device_block_merge_oddeven_kernelINS1_37wrapped_merge_sort_block_merge_configINS0_14default_configEiN2at4cuda3cub6detail10OpaqueTypeILi2EEEEEPiSC_PSA_SD_jNS1_19radix_merge_compareILb1ELb0EiNS0_19identity_decomposerEEEEEvT0_T1_T2_T3_T4_SL_T5_.numbered_sgpr, 22
	.set _ZN7rocprim17ROCPRIM_304000_NS6detail33device_block_merge_oddeven_kernelINS1_37wrapped_merge_sort_block_merge_configINS0_14default_configEiN2at4cuda3cub6detail10OpaqueTypeILi2EEEEEPiSC_PSA_SD_jNS1_19radix_merge_compareILb1ELb0EiNS0_19identity_decomposerEEEEEvT0_T1_T2_T3_T4_SL_T5_.num_named_barrier, 0
	.set _ZN7rocprim17ROCPRIM_304000_NS6detail33device_block_merge_oddeven_kernelINS1_37wrapped_merge_sort_block_merge_configINS0_14default_configEiN2at4cuda3cub6detail10OpaqueTypeILi2EEEEEPiSC_PSA_SD_jNS1_19radix_merge_compareILb1ELb0EiNS0_19identity_decomposerEEEEEvT0_T1_T2_T3_T4_SL_T5_.private_seg_size, 0
	.set _ZN7rocprim17ROCPRIM_304000_NS6detail33device_block_merge_oddeven_kernelINS1_37wrapped_merge_sort_block_merge_configINS0_14default_configEiN2at4cuda3cub6detail10OpaqueTypeILi2EEEEEPiSC_PSA_SD_jNS1_19radix_merge_compareILb1ELb0EiNS0_19identity_decomposerEEEEEvT0_T1_T2_T3_T4_SL_T5_.uses_vcc, 1
	.set _ZN7rocprim17ROCPRIM_304000_NS6detail33device_block_merge_oddeven_kernelINS1_37wrapped_merge_sort_block_merge_configINS0_14default_configEiN2at4cuda3cub6detail10OpaqueTypeILi2EEEEEPiSC_PSA_SD_jNS1_19radix_merge_compareILb1ELb0EiNS0_19identity_decomposerEEEEEvT0_T1_T2_T3_T4_SL_T5_.uses_flat_scratch, 0
	.set _ZN7rocprim17ROCPRIM_304000_NS6detail33device_block_merge_oddeven_kernelINS1_37wrapped_merge_sort_block_merge_configINS0_14default_configEiN2at4cuda3cub6detail10OpaqueTypeILi2EEEEEPiSC_PSA_SD_jNS1_19radix_merge_compareILb1ELb0EiNS0_19identity_decomposerEEEEEvT0_T1_T2_T3_T4_SL_T5_.has_dyn_sized_stack, 0
	.set _ZN7rocprim17ROCPRIM_304000_NS6detail33device_block_merge_oddeven_kernelINS1_37wrapped_merge_sort_block_merge_configINS0_14default_configEiN2at4cuda3cub6detail10OpaqueTypeILi2EEEEEPiSC_PSA_SD_jNS1_19radix_merge_compareILb1ELb0EiNS0_19identity_decomposerEEEEEvT0_T1_T2_T3_T4_SL_T5_.has_recursion, 0
	.set _ZN7rocprim17ROCPRIM_304000_NS6detail33device_block_merge_oddeven_kernelINS1_37wrapped_merge_sort_block_merge_configINS0_14default_configEiN2at4cuda3cub6detail10OpaqueTypeILi2EEEEEPiSC_PSA_SD_jNS1_19radix_merge_compareILb1ELb0EiNS0_19identity_decomposerEEEEEvT0_T1_T2_T3_T4_SL_T5_.has_indirect_call, 0
	.section	.AMDGPU.csdata,"",@progbits
; Kernel info:
; codeLenInByte = 844
; TotalNumSgprs: 26
; NumVgprs: 11
; ScratchSize: 0
; MemoryBound: 0
; FloatMode: 240
; IeeeMode: 1
; LDSByteSize: 0 bytes/workgroup (compile time only)
; SGPRBlocks: 3
; VGPRBlocks: 2
; NumSGPRsForWavesPerEU: 26
; NumVGPRsForWavesPerEU: 11
; Occupancy: 10
; WaveLimiterHint : 0
; COMPUTE_PGM_RSRC2:SCRATCH_EN: 0
; COMPUTE_PGM_RSRC2:USER_SGPR: 6
; COMPUTE_PGM_RSRC2:TRAP_HANDLER: 0
; COMPUTE_PGM_RSRC2:TGID_X_EN: 1
; COMPUTE_PGM_RSRC2:TGID_Y_EN: 0
; COMPUTE_PGM_RSRC2:TGID_Z_EN: 0
; COMPUTE_PGM_RSRC2:TIDIG_COMP_CNT: 0
	.section	.text._ZN7rocprim17ROCPRIM_304000_NS6detail16transform_kernelINS1_24wrapped_transform_configINS0_14default_configEiEEiPiS6_NS0_8identityIiEEEEvT1_mT2_T3_,"axG",@progbits,_ZN7rocprim17ROCPRIM_304000_NS6detail16transform_kernelINS1_24wrapped_transform_configINS0_14default_configEiEEiPiS6_NS0_8identityIiEEEEvT1_mT2_T3_,comdat
	.protected	_ZN7rocprim17ROCPRIM_304000_NS6detail16transform_kernelINS1_24wrapped_transform_configINS0_14default_configEiEEiPiS6_NS0_8identityIiEEEEvT1_mT2_T3_ ; -- Begin function _ZN7rocprim17ROCPRIM_304000_NS6detail16transform_kernelINS1_24wrapped_transform_configINS0_14default_configEiEEiPiS6_NS0_8identityIiEEEEvT1_mT2_T3_
	.globl	_ZN7rocprim17ROCPRIM_304000_NS6detail16transform_kernelINS1_24wrapped_transform_configINS0_14default_configEiEEiPiS6_NS0_8identityIiEEEEvT1_mT2_T3_
	.p2align	8
	.type	_ZN7rocprim17ROCPRIM_304000_NS6detail16transform_kernelINS1_24wrapped_transform_configINS0_14default_configEiEEiPiS6_NS0_8identityIiEEEEvT1_mT2_T3_,@function
_ZN7rocprim17ROCPRIM_304000_NS6detail16transform_kernelINS1_24wrapped_transform_configINS0_14default_configEiEEiPiS6_NS0_8identityIiEEEEvT1_mT2_T3_: ; @_ZN7rocprim17ROCPRIM_304000_NS6detail16transform_kernelINS1_24wrapped_transform_configINS0_14default_configEiEEiPiS6_NS0_8identityIiEEEEvT1_mT2_T3_
; %bb.0:
	s_load_dword s7, s[4:5], 0x20
	s_load_dwordx4 s[0:3], s[4:5], 0x0
	s_load_dwordx2 s[8:9], s[4:5], 0x10
	s_lshl_b32 s10, s6, 11
	s_mov_b32 s11, 0
	s_waitcnt lgkmcnt(0)
	s_add_i32 s7, s7, -1
	s_lshl_b64 s[4:5], s[10:11], 2
	s_add_u32 s0, s0, s4
	s_addc_u32 s1, s1, s5
	v_lshlrev_b32_e32 v5, 2, v0
	v_mov_b32_e32 v2, s1
	v_add_co_u32_e32 v1, vcc, s0, v5
	s_cmp_lg_u32 s6, s7
	v_addc_co_u32_e32 v2, vcc, 0, v2, vcc
	s_cbranch_scc0 .LBB5_2
; %bb.1:
	v_add_co_u32_e32 v3, vcc, 0x1000, v1
	global_load_dword v6, v[1:2], off
	v_addc_co_u32_e32 v4, vcc, 0, v2, vcc
	global_load_dword v3, v[3:4], off
	s_add_u32 s0, s8, s4
	s_addc_u32 s1, s9, s5
	s_mov_b64 s[6:7], -1
	s_waitcnt vmcnt(1)
	global_store_dword v5, v6, s[0:1]
	s_cbranch_execz .LBB5_3
	s_branch .LBB5_10
.LBB5_2:
	s_mov_b64 s[6:7], 0
                                        ; implicit-def: $vgpr3
.LBB5_3:
	s_sub_i32 s10, s2, s10
	s_waitcnt vmcnt(1)
	v_mov_b32_e32 v3, 0
	v_cmp_gt_u32_e64 s[0:1], s10, v0
	v_mov_b32_e32 v4, v3
	s_and_saveexec_b64 s[2:3], s[0:1]
	s_cbranch_execz .LBB5_5
; %bb.4:
	global_load_dword v6, v[1:2], off
	v_mov_b32_e32 v7, v3
	s_waitcnt vmcnt(0)
	v_mov_b32_e32 v3, v6
	v_mov_b32_e32 v4, v7
.LBB5_5:
	s_or_b64 exec, exec, s[2:3]
	v_or_b32_e32 v0, 0x400, v0
	v_cmp_gt_u32_e64 s[2:3], s10, v0
	s_and_saveexec_b64 s[10:11], s[2:3]
	s_cbranch_execnz .LBB5_13
; %bb.6:
	s_or_b64 exec, exec, s[10:11]
	v_cndmask_b32_e64 v0, 0, v3, s[0:1]
	s_and_saveexec_b64 s[10:11], s[0:1]
	s_cbranch_execnz .LBB5_14
.LBB5_7:
	s_or_b64 exec, exec, s[10:11]
                                        ; implicit-def: $vgpr3
	s_and_saveexec_b64 s[0:1], s[2:3]
	s_cbranch_execz .LBB5_9
.LBB5_8:
	s_waitcnt vmcnt(0)
	v_cndmask_b32_e64 v3, 0, v4, s[2:3]
	s_or_b64 s[6:7], s[6:7], exec
.LBB5_9:
	s_or_b64 exec, exec, s[0:1]
.LBB5_10:
	s_and_saveexec_b64 s[0:1], s[6:7]
	s_cbranch_execnz .LBB5_12
; %bb.11:
	s_endpgm
.LBB5_12:
	s_add_u32 s0, s8, s4
	s_addc_u32 s1, s9, s5
	v_mov_b32_e32 v0, s1
	v_add_co_u32_e32 v1, vcc, s0, v5
	v_addc_co_u32_e32 v2, vcc, 0, v0, vcc
	v_add_co_u32_e32 v0, vcc, 0x1000, v1
	v_addc_co_u32_e32 v1, vcc, 0, v2, vcc
	s_waitcnt vmcnt(1)
	global_store_dword v[0:1], v3, off
	s_endpgm
.LBB5_13:
	v_add_co_u32_e32 v0, vcc, 0x1000, v1
	v_addc_co_u32_e32 v1, vcc, 0, v2, vcc
	global_load_dword v4, v[0:1], off
	s_or_b64 exec, exec, s[10:11]
	v_cndmask_b32_e64 v0, 0, v3, s[0:1]
	s_and_saveexec_b64 s[10:11], s[0:1]
	s_cbranch_execz .LBB5_7
.LBB5_14:
	s_add_u32 s0, s8, s4
	s_addc_u32 s1, s9, s5
	global_store_dword v5, v0, s[0:1]
	s_or_b64 exec, exec, s[10:11]
                                        ; implicit-def: $vgpr3
	s_and_saveexec_b64 s[0:1], s[2:3]
	s_cbranch_execnz .LBB5_8
	s_branch .LBB5_9
	.section	.rodata,"a",@progbits
	.p2align	6, 0x0
	.amdhsa_kernel _ZN7rocprim17ROCPRIM_304000_NS6detail16transform_kernelINS1_24wrapped_transform_configINS0_14default_configEiEEiPiS6_NS0_8identityIiEEEEvT1_mT2_T3_
		.amdhsa_group_segment_fixed_size 0
		.amdhsa_private_segment_fixed_size 0
		.amdhsa_kernarg_size 288
		.amdhsa_user_sgpr_count 6
		.amdhsa_user_sgpr_private_segment_buffer 1
		.amdhsa_user_sgpr_dispatch_ptr 0
		.amdhsa_user_sgpr_queue_ptr 0
		.amdhsa_user_sgpr_kernarg_segment_ptr 1
		.amdhsa_user_sgpr_dispatch_id 0
		.amdhsa_user_sgpr_flat_scratch_init 0
		.amdhsa_user_sgpr_private_segment_size 0
		.amdhsa_uses_dynamic_stack 0
		.amdhsa_system_sgpr_private_segment_wavefront_offset 0
		.amdhsa_system_sgpr_workgroup_id_x 1
		.amdhsa_system_sgpr_workgroup_id_y 0
		.amdhsa_system_sgpr_workgroup_id_z 0
		.amdhsa_system_sgpr_workgroup_info 0
		.amdhsa_system_vgpr_workitem_id 0
		.amdhsa_next_free_vgpr 8
		.amdhsa_next_free_sgpr 12
		.amdhsa_reserve_vcc 1
		.amdhsa_reserve_flat_scratch 0
		.amdhsa_float_round_mode_32 0
		.amdhsa_float_round_mode_16_64 0
		.amdhsa_float_denorm_mode_32 3
		.amdhsa_float_denorm_mode_16_64 3
		.amdhsa_dx10_clamp 1
		.amdhsa_ieee_mode 1
		.amdhsa_fp16_overflow 0
		.amdhsa_exception_fp_ieee_invalid_op 0
		.amdhsa_exception_fp_denorm_src 0
		.amdhsa_exception_fp_ieee_div_zero 0
		.amdhsa_exception_fp_ieee_overflow 0
		.amdhsa_exception_fp_ieee_underflow 0
		.amdhsa_exception_fp_ieee_inexact 0
		.amdhsa_exception_int_div_zero 0
	.end_amdhsa_kernel
	.section	.text._ZN7rocprim17ROCPRIM_304000_NS6detail16transform_kernelINS1_24wrapped_transform_configINS0_14default_configEiEEiPiS6_NS0_8identityIiEEEEvT1_mT2_T3_,"axG",@progbits,_ZN7rocprim17ROCPRIM_304000_NS6detail16transform_kernelINS1_24wrapped_transform_configINS0_14default_configEiEEiPiS6_NS0_8identityIiEEEEvT1_mT2_T3_,comdat
.Lfunc_end5:
	.size	_ZN7rocprim17ROCPRIM_304000_NS6detail16transform_kernelINS1_24wrapped_transform_configINS0_14default_configEiEEiPiS6_NS0_8identityIiEEEEvT1_mT2_T3_, .Lfunc_end5-_ZN7rocprim17ROCPRIM_304000_NS6detail16transform_kernelINS1_24wrapped_transform_configINS0_14default_configEiEEiPiS6_NS0_8identityIiEEEEvT1_mT2_T3_
                                        ; -- End function
	.set _ZN7rocprim17ROCPRIM_304000_NS6detail16transform_kernelINS1_24wrapped_transform_configINS0_14default_configEiEEiPiS6_NS0_8identityIiEEEEvT1_mT2_T3_.num_vgpr, 8
	.set _ZN7rocprim17ROCPRIM_304000_NS6detail16transform_kernelINS1_24wrapped_transform_configINS0_14default_configEiEEiPiS6_NS0_8identityIiEEEEvT1_mT2_T3_.num_agpr, 0
	.set _ZN7rocprim17ROCPRIM_304000_NS6detail16transform_kernelINS1_24wrapped_transform_configINS0_14default_configEiEEiPiS6_NS0_8identityIiEEEEvT1_mT2_T3_.numbered_sgpr, 12
	.set _ZN7rocprim17ROCPRIM_304000_NS6detail16transform_kernelINS1_24wrapped_transform_configINS0_14default_configEiEEiPiS6_NS0_8identityIiEEEEvT1_mT2_T3_.num_named_barrier, 0
	.set _ZN7rocprim17ROCPRIM_304000_NS6detail16transform_kernelINS1_24wrapped_transform_configINS0_14default_configEiEEiPiS6_NS0_8identityIiEEEEvT1_mT2_T3_.private_seg_size, 0
	.set _ZN7rocprim17ROCPRIM_304000_NS6detail16transform_kernelINS1_24wrapped_transform_configINS0_14default_configEiEEiPiS6_NS0_8identityIiEEEEvT1_mT2_T3_.uses_vcc, 1
	.set _ZN7rocprim17ROCPRIM_304000_NS6detail16transform_kernelINS1_24wrapped_transform_configINS0_14default_configEiEEiPiS6_NS0_8identityIiEEEEvT1_mT2_T3_.uses_flat_scratch, 0
	.set _ZN7rocprim17ROCPRIM_304000_NS6detail16transform_kernelINS1_24wrapped_transform_configINS0_14default_configEiEEiPiS6_NS0_8identityIiEEEEvT1_mT2_T3_.has_dyn_sized_stack, 0
	.set _ZN7rocprim17ROCPRIM_304000_NS6detail16transform_kernelINS1_24wrapped_transform_configINS0_14default_configEiEEiPiS6_NS0_8identityIiEEEEvT1_mT2_T3_.has_recursion, 0
	.set _ZN7rocprim17ROCPRIM_304000_NS6detail16transform_kernelINS1_24wrapped_transform_configINS0_14default_configEiEEiPiS6_NS0_8identityIiEEEEvT1_mT2_T3_.has_indirect_call, 0
	.section	.AMDGPU.csdata,"",@progbits
; Kernel info:
; codeLenInByte = 408
; TotalNumSgprs: 16
; NumVgprs: 8
; ScratchSize: 0
; MemoryBound: 0
; FloatMode: 240
; IeeeMode: 1
; LDSByteSize: 0 bytes/workgroup (compile time only)
; SGPRBlocks: 1
; VGPRBlocks: 1
; NumSGPRsForWavesPerEU: 16
; NumVGPRsForWavesPerEU: 8
; Occupancy: 10
; WaveLimiterHint : 1
; COMPUTE_PGM_RSRC2:SCRATCH_EN: 0
; COMPUTE_PGM_RSRC2:USER_SGPR: 6
; COMPUTE_PGM_RSRC2:TRAP_HANDLER: 0
; COMPUTE_PGM_RSRC2:TGID_X_EN: 1
; COMPUTE_PGM_RSRC2:TGID_Y_EN: 0
; COMPUTE_PGM_RSRC2:TGID_Z_EN: 0
; COMPUTE_PGM_RSRC2:TIDIG_COMP_CNT: 0
	.section	.text._ZN7rocprim17ROCPRIM_304000_NS6detail16transform_kernelINS1_24wrapped_transform_configINS0_14default_configEN2at4cuda3cub6detail10OpaqueTypeILi2EEEEESA_PSA_SC_NS0_8identityISA_EEEEvT1_mT2_T3_,"axG",@progbits,_ZN7rocprim17ROCPRIM_304000_NS6detail16transform_kernelINS1_24wrapped_transform_configINS0_14default_configEN2at4cuda3cub6detail10OpaqueTypeILi2EEEEESA_PSA_SC_NS0_8identityISA_EEEEvT1_mT2_T3_,comdat
	.protected	_ZN7rocprim17ROCPRIM_304000_NS6detail16transform_kernelINS1_24wrapped_transform_configINS0_14default_configEN2at4cuda3cub6detail10OpaqueTypeILi2EEEEESA_PSA_SC_NS0_8identityISA_EEEEvT1_mT2_T3_ ; -- Begin function _ZN7rocprim17ROCPRIM_304000_NS6detail16transform_kernelINS1_24wrapped_transform_configINS0_14default_configEN2at4cuda3cub6detail10OpaqueTypeILi2EEEEESA_PSA_SC_NS0_8identityISA_EEEEvT1_mT2_T3_
	.globl	_ZN7rocprim17ROCPRIM_304000_NS6detail16transform_kernelINS1_24wrapped_transform_configINS0_14default_configEN2at4cuda3cub6detail10OpaqueTypeILi2EEEEESA_PSA_SC_NS0_8identityISA_EEEEvT1_mT2_T3_
	.p2align	8
	.type	_ZN7rocprim17ROCPRIM_304000_NS6detail16transform_kernelINS1_24wrapped_transform_configINS0_14default_configEN2at4cuda3cub6detail10OpaqueTypeILi2EEEEESA_PSA_SC_NS0_8identityISA_EEEEvT1_mT2_T3_,@function
_ZN7rocprim17ROCPRIM_304000_NS6detail16transform_kernelINS1_24wrapped_transform_configINS0_14default_configEN2at4cuda3cub6detail10OpaqueTypeILi2EEEEESA_PSA_SC_NS0_8identityISA_EEEEvT1_mT2_T3_: ; @_ZN7rocprim17ROCPRIM_304000_NS6detail16transform_kernelINS1_24wrapped_transform_configINS0_14default_configEN2at4cuda3cub6detail10OpaqueTypeILi2EEEEESA_PSA_SC_NS0_8identityISA_EEEEvT1_mT2_T3_
; %bb.0:
	s_load_dword s7, s[4:5], 0x20
	s_load_dwordx4 s[0:3], s[4:5], 0x0
	s_load_dwordx2 s[8:9], s[4:5], 0x10
	s_lshl_b32 s4, s6, 11
	s_mov_b32 s5, 0
	s_waitcnt lgkmcnt(0)
	s_add_i32 s7, s7, -1
	s_lshl_b64 s[10:11], s[4:5], 1
	s_add_u32 s0, s0, s10
	s_addc_u32 s1, s1, s11
	v_lshlrev_b32_e32 v3, 1, v0
	v_mov_b32_e32 v2, s1
	v_add_co_u32_e32 v1, vcc, s0, v3
	s_cmp_lg_u32 s6, s7
	v_addc_co_u32_e32 v2, vcc, 0, v2, vcc
	s_cbranch_scc0 .LBB6_2
; %bb.1:
	global_load_ushort v5, v[1:2], off
	global_load_ushort v6, v[1:2], off offset:1024
	global_load_ushort v7, v[1:2], off offset:2048
	;; [unrolled: 1-line block ×3, first 2 shown]
	s_add_u32 s6, s8, s10
	s_addc_u32 s7, s9, s11
	s_waitcnt vmcnt(3)
	global_store_short v3, v5, s[6:7]
	s_waitcnt vmcnt(3)
	global_store_short v3, v6, s[6:7] offset:1024
	s_waitcnt vmcnt(3)
	global_store_short v3, v7, s[6:7] offset:2048
	s_mov_b64 s[6:7], -1
	s_cbranch_execz .LBB6_3
	s_branch .LBB6_16
.LBB6_2:
	s_mov_b64 s[6:7], 0
                                        ; implicit-def: $vgpr4
.LBB6_3:
	s_sub_i32 s6, s2, s4
	v_cmp_gt_u32_e32 vcc, s6, v0
                                        ; implicit-def: $vgpr5
	s_and_saveexec_b64 s[0:1], vcc
	s_cbranch_execz .LBB6_5
; %bb.4:
	global_load_ushort v5, v[1:2], off
.LBB6_5:
	s_or_b64 exec, exec, s[0:1]
	s_waitcnt vmcnt(3)
	v_or_b32_e32 v4, 0x200, v0
	v_cmp_gt_u32_e64 s[0:1], s6, v4
                                        ; implicit-def: $vgpr6
	s_and_saveexec_b64 s[2:3], s[0:1]
	s_cbranch_execz .LBB6_7
; %bb.6:
	global_load_ushort v6, v[1:2], off offset:1024
.LBB6_7:
	s_or_b64 exec, exec, s[2:3]
	v_or_b32_e32 v4, 0x400, v0
	v_cmp_gt_u32_e64 s[2:3], s6, v4
                                        ; implicit-def: $vgpr7
	s_and_saveexec_b64 s[4:5], s[2:3]
	s_cbranch_execz .LBB6_9
; %bb.8:
	global_load_ushort v7, v[1:2], off offset:2048
.LBB6_9:
	s_or_b64 exec, exec, s[4:5]
	v_or_b32_e32 v0, 0x600, v0
	v_cmp_gt_u32_e64 s[6:7], s6, v0
                                        ; implicit-def: $vgpr4
	s_and_saveexec_b64 s[4:5], s[6:7]
	s_cbranch_execz .LBB6_11
; %bb.10:
	global_load_ushort v4, v[1:2], off offset:3072
.LBB6_11:
	s_or_b64 exec, exec, s[4:5]
	s_add_u32 s4, s8, s10
	s_addc_u32 s5, s9, s11
	v_mov_b32_e32 v1, s5
	v_add_co_u32_e64 v0, s[4:5], s4, v3
	v_addc_co_u32_e64 v1, s[4:5], 0, v1, s[4:5]
	s_and_saveexec_b64 s[4:5], vcc
	s_cbranch_execnz .LBB6_19
; %bb.12:
	s_or_b64 exec, exec, s[4:5]
	s_and_saveexec_b64 s[4:5], s[0:1]
	s_cbranch_execnz .LBB6_20
.LBB6_13:
	s_or_b64 exec, exec, s[4:5]
	s_and_saveexec_b64 s[0:1], s[2:3]
	s_cbranch_execz .LBB6_15
.LBB6_14:
	s_waitcnt vmcnt(0)
	global_store_short v[0:1], v7, off offset:2048
.LBB6_15:
	s_or_b64 exec, exec, s[0:1]
.LBB6_16:
	s_and_saveexec_b64 s[0:1], s[6:7]
	s_cbranch_execnz .LBB6_18
; %bb.17:
	s_endpgm
.LBB6_18:
	s_add_u32 s0, s8, s10
	s_addc_u32 s1, s9, s11
	s_waitcnt vmcnt(0)
	global_store_short v3, v4, s[0:1] offset:3072
	s_endpgm
.LBB6_19:
	s_waitcnt vmcnt(0)
	global_store_short v[0:1], v5, off
	s_or_b64 exec, exec, s[4:5]
	s_and_saveexec_b64 s[4:5], s[0:1]
	s_cbranch_execz .LBB6_13
.LBB6_20:
	s_waitcnt vmcnt(0)
	global_store_short v[0:1], v6, off offset:1024
	s_or_b64 exec, exec, s[4:5]
	s_and_saveexec_b64 s[0:1], s[2:3]
	s_cbranch_execnz .LBB6_14
	s_branch .LBB6_15
	.section	.rodata,"a",@progbits
	.p2align	6, 0x0
	.amdhsa_kernel _ZN7rocprim17ROCPRIM_304000_NS6detail16transform_kernelINS1_24wrapped_transform_configINS0_14default_configEN2at4cuda3cub6detail10OpaqueTypeILi2EEEEESA_PSA_SC_NS0_8identityISA_EEEEvT1_mT2_T3_
		.amdhsa_group_segment_fixed_size 0
		.amdhsa_private_segment_fixed_size 0
		.amdhsa_kernarg_size 288
		.amdhsa_user_sgpr_count 6
		.amdhsa_user_sgpr_private_segment_buffer 1
		.amdhsa_user_sgpr_dispatch_ptr 0
		.amdhsa_user_sgpr_queue_ptr 0
		.amdhsa_user_sgpr_kernarg_segment_ptr 1
		.amdhsa_user_sgpr_dispatch_id 0
		.amdhsa_user_sgpr_flat_scratch_init 0
		.amdhsa_user_sgpr_private_segment_size 0
		.amdhsa_uses_dynamic_stack 0
		.amdhsa_system_sgpr_private_segment_wavefront_offset 0
		.amdhsa_system_sgpr_workgroup_id_x 1
		.amdhsa_system_sgpr_workgroup_id_y 0
		.amdhsa_system_sgpr_workgroup_id_z 0
		.amdhsa_system_sgpr_workgroup_info 0
		.amdhsa_system_vgpr_workitem_id 0
		.amdhsa_next_free_vgpr 8
		.amdhsa_next_free_sgpr 12
		.amdhsa_reserve_vcc 1
		.amdhsa_reserve_flat_scratch 0
		.amdhsa_float_round_mode_32 0
		.amdhsa_float_round_mode_16_64 0
		.amdhsa_float_denorm_mode_32 3
		.amdhsa_float_denorm_mode_16_64 3
		.amdhsa_dx10_clamp 1
		.amdhsa_ieee_mode 1
		.amdhsa_fp16_overflow 0
		.amdhsa_exception_fp_ieee_invalid_op 0
		.amdhsa_exception_fp_denorm_src 0
		.amdhsa_exception_fp_ieee_div_zero 0
		.amdhsa_exception_fp_ieee_overflow 0
		.amdhsa_exception_fp_ieee_underflow 0
		.amdhsa_exception_fp_ieee_inexact 0
		.amdhsa_exception_int_div_zero 0
	.end_amdhsa_kernel
	.section	.text._ZN7rocprim17ROCPRIM_304000_NS6detail16transform_kernelINS1_24wrapped_transform_configINS0_14default_configEN2at4cuda3cub6detail10OpaqueTypeILi2EEEEESA_PSA_SC_NS0_8identityISA_EEEEvT1_mT2_T3_,"axG",@progbits,_ZN7rocprim17ROCPRIM_304000_NS6detail16transform_kernelINS1_24wrapped_transform_configINS0_14default_configEN2at4cuda3cub6detail10OpaqueTypeILi2EEEEESA_PSA_SC_NS0_8identityISA_EEEEvT1_mT2_T3_,comdat
.Lfunc_end6:
	.size	_ZN7rocprim17ROCPRIM_304000_NS6detail16transform_kernelINS1_24wrapped_transform_configINS0_14default_configEN2at4cuda3cub6detail10OpaqueTypeILi2EEEEESA_PSA_SC_NS0_8identityISA_EEEEvT1_mT2_T3_, .Lfunc_end6-_ZN7rocprim17ROCPRIM_304000_NS6detail16transform_kernelINS1_24wrapped_transform_configINS0_14default_configEN2at4cuda3cub6detail10OpaqueTypeILi2EEEEESA_PSA_SC_NS0_8identityISA_EEEEvT1_mT2_T3_
                                        ; -- End function
	.set _ZN7rocprim17ROCPRIM_304000_NS6detail16transform_kernelINS1_24wrapped_transform_configINS0_14default_configEN2at4cuda3cub6detail10OpaqueTypeILi2EEEEESA_PSA_SC_NS0_8identityISA_EEEEvT1_mT2_T3_.num_vgpr, 8
	.set _ZN7rocprim17ROCPRIM_304000_NS6detail16transform_kernelINS1_24wrapped_transform_configINS0_14default_configEN2at4cuda3cub6detail10OpaqueTypeILi2EEEEESA_PSA_SC_NS0_8identityISA_EEEEvT1_mT2_T3_.num_agpr, 0
	.set _ZN7rocprim17ROCPRIM_304000_NS6detail16transform_kernelINS1_24wrapped_transform_configINS0_14default_configEN2at4cuda3cub6detail10OpaqueTypeILi2EEEEESA_PSA_SC_NS0_8identityISA_EEEEvT1_mT2_T3_.numbered_sgpr, 12
	.set _ZN7rocprim17ROCPRIM_304000_NS6detail16transform_kernelINS1_24wrapped_transform_configINS0_14default_configEN2at4cuda3cub6detail10OpaqueTypeILi2EEEEESA_PSA_SC_NS0_8identityISA_EEEEvT1_mT2_T3_.num_named_barrier, 0
	.set _ZN7rocprim17ROCPRIM_304000_NS6detail16transform_kernelINS1_24wrapped_transform_configINS0_14default_configEN2at4cuda3cub6detail10OpaqueTypeILi2EEEEESA_PSA_SC_NS0_8identityISA_EEEEvT1_mT2_T3_.private_seg_size, 0
	.set _ZN7rocprim17ROCPRIM_304000_NS6detail16transform_kernelINS1_24wrapped_transform_configINS0_14default_configEN2at4cuda3cub6detail10OpaqueTypeILi2EEEEESA_PSA_SC_NS0_8identityISA_EEEEvT1_mT2_T3_.uses_vcc, 1
	.set _ZN7rocprim17ROCPRIM_304000_NS6detail16transform_kernelINS1_24wrapped_transform_configINS0_14default_configEN2at4cuda3cub6detail10OpaqueTypeILi2EEEEESA_PSA_SC_NS0_8identityISA_EEEEvT1_mT2_T3_.uses_flat_scratch, 0
	.set _ZN7rocprim17ROCPRIM_304000_NS6detail16transform_kernelINS1_24wrapped_transform_configINS0_14default_configEN2at4cuda3cub6detail10OpaqueTypeILi2EEEEESA_PSA_SC_NS0_8identityISA_EEEEvT1_mT2_T3_.has_dyn_sized_stack, 0
	.set _ZN7rocprim17ROCPRIM_304000_NS6detail16transform_kernelINS1_24wrapped_transform_configINS0_14default_configEN2at4cuda3cub6detail10OpaqueTypeILi2EEEEESA_PSA_SC_NS0_8identityISA_EEEEvT1_mT2_T3_.has_recursion, 0
	.set _ZN7rocprim17ROCPRIM_304000_NS6detail16transform_kernelINS1_24wrapped_transform_configINS0_14default_configEN2at4cuda3cub6detail10OpaqueTypeILi2EEEEESA_PSA_SC_NS0_8identityISA_EEEEvT1_mT2_T3_.has_indirect_call, 0
	.section	.AMDGPU.csdata,"",@progbits
; Kernel info:
; codeLenInByte = 472
; TotalNumSgprs: 16
; NumVgprs: 8
; ScratchSize: 0
; MemoryBound: 0
; FloatMode: 240
; IeeeMode: 1
; LDSByteSize: 0 bytes/workgroup (compile time only)
; SGPRBlocks: 1
; VGPRBlocks: 1
; NumSGPRsForWavesPerEU: 16
; NumVGPRsForWavesPerEU: 8
; Occupancy: 10
; WaveLimiterHint : 1
; COMPUTE_PGM_RSRC2:SCRATCH_EN: 0
; COMPUTE_PGM_RSRC2:USER_SGPR: 6
; COMPUTE_PGM_RSRC2:TRAP_HANDLER: 0
; COMPUTE_PGM_RSRC2:TGID_X_EN: 1
; COMPUTE_PGM_RSRC2:TGID_Y_EN: 0
; COMPUTE_PGM_RSRC2:TGID_Z_EN: 0
; COMPUTE_PGM_RSRC2:TIDIG_COMP_CNT: 0
	.section	.text._ZN7rocprim17ROCPRIM_304000_NS6detail45device_block_merge_mergepath_partition_kernelINS1_37wrapped_merge_sort_block_merge_configINS0_14default_configEiN2at4cuda3cub6detail10OpaqueTypeILi2EEEEEPijNS1_19radix_merge_compareILb1ELb1EiNS0_19identity_decomposerEEEEEvT0_T1_jPSH_T2_SH_,"axG",@progbits,_ZN7rocprim17ROCPRIM_304000_NS6detail45device_block_merge_mergepath_partition_kernelINS1_37wrapped_merge_sort_block_merge_configINS0_14default_configEiN2at4cuda3cub6detail10OpaqueTypeILi2EEEEEPijNS1_19radix_merge_compareILb1ELb1EiNS0_19identity_decomposerEEEEEvT0_T1_jPSH_T2_SH_,comdat
	.protected	_ZN7rocprim17ROCPRIM_304000_NS6detail45device_block_merge_mergepath_partition_kernelINS1_37wrapped_merge_sort_block_merge_configINS0_14default_configEiN2at4cuda3cub6detail10OpaqueTypeILi2EEEEEPijNS1_19radix_merge_compareILb1ELb1EiNS0_19identity_decomposerEEEEEvT0_T1_jPSH_T2_SH_ ; -- Begin function _ZN7rocprim17ROCPRIM_304000_NS6detail45device_block_merge_mergepath_partition_kernelINS1_37wrapped_merge_sort_block_merge_configINS0_14default_configEiN2at4cuda3cub6detail10OpaqueTypeILi2EEEEEPijNS1_19radix_merge_compareILb1ELb1EiNS0_19identity_decomposerEEEEEvT0_T1_jPSH_T2_SH_
	.globl	_ZN7rocprim17ROCPRIM_304000_NS6detail45device_block_merge_mergepath_partition_kernelINS1_37wrapped_merge_sort_block_merge_configINS0_14default_configEiN2at4cuda3cub6detail10OpaqueTypeILi2EEEEEPijNS1_19radix_merge_compareILb1ELb1EiNS0_19identity_decomposerEEEEEvT0_T1_jPSH_T2_SH_
	.p2align	8
	.type	_ZN7rocprim17ROCPRIM_304000_NS6detail45device_block_merge_mergepath_partition_kernelINS1_37wrapped_merge_sort_block_merge_configINS0_14default_configEiN2at4cuda3cub6detail10OpaqueTypeILi2EEEEEPijNS1_19radix_merge_compareILb1ELb1EiNS0_19identity_decomposerEEEEEvT0_T1_jPSH_T2_SH_,@function
_ZN7rocprim17ROCPRIM_304000_NS6detail45device_block_merge_mergepath_partition_kernelINS1_37wrapped_merge_sort_block_merge_configINS0_14default_configEiN2at4cuda3cub6detail10OpaqueTypeILi2EEEEEPijNS1_19radix_merge_compareILb1ELb1EiNS0_19identity_decomposerEEEEEvT0_T1_jPSH_T2_SH_: ; @_ZN7rocprim17ROCPRIM_304000_NS6detail45device_block_merge_mergepath_partition_kernelINS1_37wrapped_merge_sort_block_merge_configINS0_14default_configEiN2at4cuda3cub6detail10OpaqueTypeILi2EEEEEPijNS1_19radix_merge_compareILb1ELb1EiNS0_19identity_decomposerEEEEEvT0_T1_jPSH_T2_SH_
; %bb.0:
	s_load_dwordx2 s[2:3], s[4:5], 0x8
	v_lshl_or_b32 v0, s6, 7, v0
	s_waitcnt lgkmcnt(0)
	v_cmp_gt_u32_e32 vcc, s3, v0
	s_and_saveexec_b64 s[0:1], vcc
	s_cbranch_execz .LBB7_6
; %bb.1:
	s_load_dwordx2 s[0:1], s[4:5], 0x18
	s_waitcnt lgkmcnt(0)
	s_lshr_b32 s3, s1, 9
	s_and_b32 s3, s3, 0x7ffffe
	s_add_i32 s6, s3, -1
	s_sub_i32 s3, 0, s3
	v_and_b32_e32 v1, s3, v0
	v_lshlrev_b32_e32 v3, 10, v1
	v_min_u32_e32 v1, s2, v3
	v_add_u32_e32 v3, s1, v3
	v_min_u32_e32 v3, s2, v3
	v_add_u32_e32 v4, s1, v3
	v_and_b32_e32 v2, s6, v0
	v_min_u32_e32 v4, s2, v4
	v_lshlrev_b32_e32 v2, 10, v2
	v_sub_u32_e32 v5, v4, v1
	v_min_u32_e32 v6, v5, v2
	v_sub_u32_e32 v2, v3, v1
	v_sub_u32_e32 v4, v4, v3
	v_sub_u32_e64 v5, v6, v4 clamp
	v_min_u32_e32 v7, v6, v2
	v_cmp_lt_u32_e32 vcc, v5, v7
	s_and_saveexec_b64 s[2:3], vcc
	s_cbranch_execz .LBB7_5
; %bb.2:
	s_load_dwordx2 s[6:7], s[4:5], 0x0
	v_mov_b32_e32 v4, 0
	v_mov_b32_e32 v2, v4
	v_lshlrev_b64 v[8:9], 2, v[1:2]
	s_waitcnt lgkmcnt(0)
	v_mov_b32_e32 v11, s7
	v_add_co_u32_e32 v2, vcc, s6, v8
	v_addc_co_u32_e32 v8, vcc, v11, v9, vcc
	v_lshlrev_b64 v[9:10], 2, v[3:4]
	v_add_co_u32_e32 v9, vcc, s6, v9
	v_addc_co_u32_e32 v10, vcc, v11, v10, vcc
	s_mov_b64 s[6:7], 0
.LBB7_3:                                ; =>This Inner Loop Header: Depth=1
	v_add_u32_e32 v3, v7, v5
	v_lshrrev_b32_e32 v3, 1, v3
	v_lshlrev_b64 v[13:14], 2, v[3:4]
	v_mov_b32_e32 v12, v4
	v_xad_u32 v11, v3, -1, v6
	v_lshlrev_b64 v[11:12], 2, v[11:12]
	v_add_co_u32_e32 v13, vcc, v2, v13
	v_addc_co_u32_e32 v14, vcc, v8, v14, vcc
	v_add_co_u32_e32 v11, vcc, v9, v11
	v_addc_co_u32_e32 v12, vcc, v10, v12, vcc
	global_load_dword v15, v[13:14], off
	global_load_dword v16, v[11:12], off
	v_add_u32_e32 v11, 1, v3
	s_waitcnt vmcnt(1)
	v_and_b32_e32 v12, s0, v15
	s_waitcnt vmcnt(0)
	v_and_b32_e32 v13, s0, v16
	v_cmp_gt_i32_e32 vcc, v13, v12
	v_cndmask_b32_e32 v7, v7, v3, vcc
	v_cndmask_b32_e32 v5, v11, v5, vcc
	v_cmp_ge_u32_e32 vcc, v5, v7
	s_or_b64 s[6:7], vcc, s[6:7]
	s_andn2_b64 exec, exec, s[6:7]
	s_cbranch_execnz .LBB7_3
; %bb.4:
	s_or_b64 exec, exec, s[6:7]
.LBB7_5:
	s_or_b64 exec, exec, s[2:3]
	s_load_dwordx2 s[0:1], s[4:5], 0x10
	v_add_u32_e32 v2, v5, v1
	v_mov_b32_e32 v1, 0
	v_lshlrev_b64 v[0:1], 2, v[0:1]
	s_waitcnt lgkmcnt(0)
	v_mov_b32_e32 v3, s1
	v_add_co_u32_e32 v0, vcc, s0, v0
	v_addc_co_u32_e32 v1, vcc, v3, v1, vcc
	global_store_dword v[0:1], v2, off
.LBB7_6:
	s_endpgm
	.section	.rodata,"a",@progbits
	.p2align	6, 0x0
	.amdhsa_kernel _ZN7rocprim17ROCPRIM_304000_NS6detail45device_block_merge_mergepath_partition_kernelINS1_37wrapped_merge_sort_block_merge_configINS0_14default_configEiN2at4cuda3cub6detail10OpaqueTypeILi2EEEEEPijNS1_19radix_merge_compareILb1ELb1EiNS0_19identity_decomposerEEEEEvT0_T1_jPSH_T2_SH_
		.amdhsa_group_segment_fixed_size 0
		.amdhsa_private_segment_fixed_size 0
		.amdhsa_kernarg_size 32
		.amdhsa_user_sgpr_count 6
		.amdhsa_user_sgpr_private_segment_buffer 1
		.amdhsa_user_sgpr_dispatch_ptr 0
		.amdhsa_user_sgpr_queue_ptr 0
		.amdhsa_user_sgpr_kernarg_segment_ptr 1
		.amdhsa_user_sgpr_dispatch_id 0
		.amdhsa_user_sgpr_flat_scratch_init 0
		.amdhsa_user_sgpr_private_segment_size 0
		.amdhsa_uses_dynamic_stack 0
		.amdhsa_system_sgpr_private_segment_wavefront_offset 0
		.amdhsa_system_sgpr_workgroup_id_x 1
		.amdhsa_system_sgpr_workgroup_id_y 0
		.amdhsa_system_sgpr_workgroup_id_z 0
		.amdhsa_system_sgpr_workgroup_info 0
		.amdhsa_system_vgpr_workitem_id 0
		.amdhsa_next_free_vgpr 17
		.amdhsa_next_free_sgpr 8
		.amdhsa_reserve_vcc 1
		.amdhsa_reserve_flat_scratch 0
		.amdhsa_float_round_mode_32 0
		.amdhsa_float_round_mode_16_64 0
		.amdhsa_float_denorm_mode_32 3
		.amdhsa_float_denorm_mode_16_64 3
		.amdhsa_dx10_clamp 1
		.amdhsa_ieee_mode 1
		.amdhsa_fp16_overflow 0
		.amdhsa_exception_fp_ieee_invalid_op 0
		.amdhsa_exception_fp_denorm_src 0
		.amdhsa_exception_fp_ieee_div_zero 0
		.amdhsa_exception_fp_ieee_overflow 0
		.amdhsa_exception_fp_ieee_underflow 0
		.amdhsa_exception_fp_ieee_inexact 0
		.amdhsa_exception_int_div_zero 0
	.end_amdhsa_kernel
	.section	.text._ZN7rocprim17ROCPRIM_304000_NS6detail45device_block_merge_mergepath_partition_kernelINS1_37wrapped_merge_sort_block_merge_configINS0_14default_configEiN2at4cuda3cub6detail10OpaqueTypeILi2EEEEEPijNS1_19radix_merge_compareILb1ELb1EiNS0_19identity_decomposerEEEEEvT0_T1_jPSH_T2_SH_,"axG",@progbits,_ZN7rocprim17ROCPRIM_304000_NS6detail45device_block_merge_mergepath_partition_kernelINS1_37wrapped_merge_sort_block_merge_configINS0_14default_configEiN2at4cuda3cub6detail10OpaqueTypeILi2EEEEEPijNS1_19radix_merge_compareILb1ELb1EiNS0_19identity_decomposerEEEEEvT0_T1_jPSH_T2_SH_,comdat
.Lfunc_end7:
	.size	_ZN7rocprim17ROCPRIM_304000_NS6detail45device_block_merge_mergepath_partition_kernelINS1_37wrapped_merge_sort_block_merge_configINS0_14default_configEiN2at4cuda3cub6detail10OpaqueTypeILi2EEEEEPijNS1_19radix_merge_compareILb1ELb1EiNS0_19identity_decomposerEEEEEvT0_T1_jPSH_T2_SH_, .Lfunc_end7-_ZN7rocprim17ROCPRIM_304000_NS6detail45device_block_merge_mergepath_partition_kernelINS1_37wrapped_merge_sort_block_merge_configINS0_14default_configEiN2at4cuda3cub6detail10OpaqueTypeILi2EEEEEPijNS1_19radix_merge_compareILb1ELb1EiNS0_19identity_decomposerEEEEEvT0_T1_jPSH_T2_SH_
                                        ; -- End function
	.set _ZN7rocprim17ROCPRIM_304000_NS6detail45device_block_merge_mergepath_partition_kernelINS1_37wrapped_merge_sort_block_merge_configINS0_14default_configEiN2at4cuda3cub6detail10OpaqueTypeILi2EEEEEPijNS1_19radix_merge_compareILb1ELb1EiNS0_19identity_decomposerEEEEEvT0_T1_jPSH_T2_SH_.num_vgpr, 17
	.set _ZN7rocprim17ROCPRIM_304000_NS6detail45device_block_merge_mergepath_partition_kernelINS1_37wrapped_merge_sort_block_merge_configINS0_14default_configEiN2at4cuda3cub6detail10OpaqueTypeILi2EEEEEPijNS1_19radix_merge_compareILb1ELb1EiNS0_19identity_decomposerEEEEEvT0_T1_jPSH_T2_SH_.num_agpr, 0
	.set _ZN7rocprim17ROCPRIM_304000_NS6detail45device_block_merge_mergepath_partition_kernelINS1_37wrapped_merge_sort_block_merge_configINS0_14default_configEiN2at4cuda3cub6detail10OpaqueTypeILi2EEEEEPijNS1_19radix_merge_compareILb1ELb1EiNS0_19identity_decomposerEEEEEvT0_T1_jPSH_T2_SH_.numbered_sgpr, 8
	.set _ZN7rocprim17ROCPRIM_304000_NS6detail45device_block_merge_mergepath_partition_kernelINS1_37wrapped_merge_sort_block_merge_configINS0_14default_configEiN2at4cuda3cub6detail10OpaqueTypeILi2EEEEEPijNS1_19radix_merge_compareILb1ELb1EiNS0_19identity_decomposerEEEEEvT0_T1_jPSH_T2_SH_.num_named_barrier, 0
	.set _ZN7rocprim17ROCPRIM_304000_NS6detail45device_block_merge_mergepath_partition_kernelINS1_37wrapped_merge_sort_block_merge_configINS0_14default_configEiN2at4cuda3cub6detail10OpaqueTypeILi2EEEEEPijNS1_19radix_merge_compareILb1ELb1EiNS0_19identity_decomposerEEEEEvT0_T1_jPSH_T2_SH_.private_seg_size, 0
	.set _ZN7rocprim17ROCPRIM_304000_NS6detail45device_block_merge_mergepath_partition_kernelINS1_37wrapped_merge_sort_block_merge_configINS0_14default_configEiN2at4cuda3cub6detail10OpaqueTypeILi2EEEEEPijNS1_19radix_merge_compareILb1ELb1EiNS0_19identity_decomposerEEEEEvT0_T1_jPSH_T2_SH_.uses_vcc, 1
	.set _ZN7rocprim17ROCPRIM_304000_NS6detail45device_block_merge_mergepath_partition_kernelINS1_37wrapped_merge_sort_block_merge_configINS0_14default_configEiN2at4cuda3cub6detail10OpaqueTypeILi2EEEEEPijNS1_19radix_merge_compareILb1ELb1EiNS0_19identity_decomposerEEEEEvT0_T1_jPSH_T2_SH_.uses_flat_scratch, 0
	.set _ZN7rocprim17ROCPRIM_304000_NS6detail45device_block_merge_mergepath_partition_kernelINS1_37wrapped_merge_sort_block_merge_configINS0_14default_configEiN2at4cuda3cub6detail10OpaqueTypeILi2EEEEEPijNS1_19radix_merge_compareILb1ELb1EiNS0_19identity_decomposerEEEEEvT0_T1_jPSH_T2_SH_.has_dyn_sized_stack, 0
	.set _ZN7rocprim17ROCPRIM_304000_NS6detail45device_block_merge_mergepath_partition_kernelINS1_37wrapped_merge_sort_block_merge_configINS0_14default_configEiN2at4cuda3cub6detail10OpaqueTypeILi2EEEEEPijNS1_19radix_merge_compareILb1ELb1EiNS0_19identity_decomposerEEEEEvT0_T1_jPSH_T2_SH_.has_recursion, 0
	.set _ZN7rocprim17ROCPRIM_304000_NS6detail45device_block_merge_mergepath_partition_kernelINS1_37wrapped_merge_sort_block_merge_configINS0_14default_configEiN2at4cuda3cub6detail10OpaqueTypeILi2EEEEEPijNS1_19radix_merge_compareILb1ELb1EiNS0_19identity_decomposerEEEEEvT0_T1_jPSH_T2_SH_.has_indirect_call, 0
	.section	.AMDGPU.csdata,"",@progbits
; Kernel info:
; codeLenInByte = 376
; TotalNumSgprs: 12
; NumVgprs: 17
; ScratchSize: 0
; MemoryBound: 0
; FloatMode: 240
; IeeeMode: 1
; LDSByteSize: 0 bytes/workgroup (compile time only)
; SGPRBlocks: 1
; VGPRBlocks: 4
; NumSGPRsForWavesPerEU: 12
; NumVGPRsForWavesPerEU: 17
; Occupancy: 10
; WaveLimiterHint : 0
; COMPUTE_PGM_RSRC2:SCRATCH_EN: 0
; COMPUTE_PGM_RSRC2:USER_SGPR: 6
; COMPUTE_PGM_RSRC2:TRAP_HANDLER: 0
; COMPUTE_PGM_RSRC2:TGID_X_EN: 1
; COMPUTE_PGM_RSRC2:TGID_Y_EN: 0
; COMPUTE_PGM_RSRC2:TGID_Z_EN: 0
; COMPUTE_PGM_RSRC2:TIDIG_COMP_CNT: 0
	.section	.text._ZN7rocprim17ROCPRIM_304000_NS6detail35device_block_merge_mergepath_kernelINS1_37wrapped_merge_sort_block_merge_configINS0_14default_configEiN2at4cuda3cub6detail10OpaqueTypeILi2EEEEEPiSC_PSA_SD_jNS1_19radix_merge_compareILb1ELb1EiNS0_19identity_decomposerEEEEEvT0_T1_T2_T3_T4_SL_jT5_PKSL_NS1_7vsmem_tE,"axG",@progbits,_ZN7rocprim17ROCPRIM_304000_NS6detail35device_block_merge_mergepath_kernelINS1_37wrapped_merge_sort_block_merge_configINS0_14default_configEiN2at4cuda3cub6detail10OpaqueTypeILi2EEEEEPiSC_PSA_SD_jNS1_19radix_merge_compareILb1ELb1EiNS0_19identity_decomposerEEEEEvT0_T1_T2_T3_T4_SL_jT5_PKSL_NS1_7vsmem_tE,comdat
	.protected	_ZN7rocprim17ROCPRIM_304000_NS6detail35device_block_merge_mergepath_kernelINS1_37wrapped_merge_sort_block_merge_configINS0_14default_configEiN2at4cuda3cub6detail10OpaqueTypeILi2EEEEEPiSC_PSA_SD_jNS1_19radix_merge_compareILb1ELb1EiNS0_19identity_decomposerEEEEEvT0_T1_T2_T3_T4_SL_jT5_PKSL_NS1_7vsmem_tE ; -- Begin function _ZN7rocprim17ROCPRIM_304000_NS6detail35device_block_merge_mergepath_kernelINS1_37wrapped_merge_sort_block_merge_configINS0_14default_configEiN2at4cuda3cub6detail10OpaqueTypeILi2EEEEEPiSC_PSA_SD_jNS1_19radix_merge_compareILb1ELb1EiNS0_19identity_decomposerEEEEEvT0_T1_T2_T3_T4_SL_jT5_PKSL_NS1_7vsmem_tE
	.globl	_ZN7rocprim17ROCPRIM_304000_NS6detail35device_block_merge_mergepath_kernelINS1_37wrapped_merge_sort_block_merge_configINS0_14default_configEiN2at4cuda3cub6detail10OpaqueTypeILi2EEEEEPiSC_PSA_SD_jNS1_19radix_merge_compareILb1ELb1EiNS0_19identity_decomposerEEEEEvT0_T1_T2_T3_T4_SL_jT5_PKSL_NS1_7vsmem_tE
	.p2align	8
	.type	_ZN7rocprim17ROCPRIM_304000_NS6detail35device_block_merge_mergepath_kernelINS1_37wrapped_merge_sort_block_merge_configINS0_14default_configEiN2at4cuda3cub6detail10OpaqueTypeILi2EEEEEPiSC_PSA_SD_jNS1_19radix_merge_compareILb1ELb1EiNS0_19identity_decomposerEEEEEvT0_T1_T2_T3_T4_SL_jT5_PKSL_NS1_7vsmem_tE,@function
_ZN7rocprim17ROCPRIM_304000_NS6detail35device_block_merge_mergepath_kernelINS1_37wrapped_merge_sort_block_merge_configINS0_14default_configEiN2at4cuda3cub6detail10OpaqueTypeILi2EEEEEPiSC_PSA_SD_jNS1_19radix_merge_compareILb1ELb1EiNS0_19identity_decomposerEEEEEvT0_T1_T2_T3_T4_SL_jT5_PKSL_NS1_7vsmem_tE: ; @_ZN7rocprim17ROCPRIM_304000_NS6detail35device_block_merge_mergepath_kernelINS1_37wrapped_merge_sort_block_merge_configINS0_14default_configEiN2at4cuda3cub6detail10OpaqueTypeILi2EEEEEPiSC_PSA_SD_jNS1_19radix_merge_compareILb1ELb1EiNS0_19identity_decomposerEEEEEvT0_T1_T2_T3_T4_SL_jT5_PKSL_NS1_7vsmem_tE
; %bb.0:
	s_load_dwordx2 s[10:11], s[4:5], 0x40
	s_load_dwordx4 s[20:23], s[4:5], 0x20
	s_add_u32 s2, s4, 64
	s_addc_u32 s3, s5, 0
	s_waitcnt lgkmcnt(0)
	s_mul_i32 s0, s11, s8
	s_add_i32 s0, s0, s7
	s_mul_i32 s0, s0, s10
	s_add_i32 s0, s0, s6
	s_cmp_ge_u32 s0, s22
	s_cbranch_scc1 .LBB8_105
; %bb.1:
	s_load_dwordx8 s[12:19], s[4:5], 0x0
	s_load_dwordx2 s[8:9], s[4:5], 0x30
	s_lshr_b32 s11, s20, 10
	s_cmp_lg_u32 s0, s11
	s_mov_b32 s1, 0
	s_cselect_b64 s[24:25], -1, 0
	s_lshl_b64 s[4:5], s[0:1], 2
	s_waitcnt lgkmcnt(0)
	s_add_u32 s4, s8, s4
	s_addc_u32 s5, s9, s5
	s_load_dwordx2 s[26:27], s[4:5], 0x0
	s_lshr_b32 s4, s21, 9
	s_and_b32 s4, s4, 0x7ffffe
	s_sub_i32 s4, 0, s4
	s_and_b32 s5, s0, s4
	s_lshl_b32 s7, s5, 10
	s_lshl_b32 s22, s0, 10
	;; [unrolled: 1-line block ×3, first 2 shown]
	s_sub_i32 s8, s22, s7
	s_add_i32 s5, s5, s21
	s_add_i32 s8, s5, s8
	s_waitcnt lgkmcnt(0)
	s_sub_i32 s9, s8, s26
	s_sub_i32 s8, s8, s27
	;; [unrolled: 1-line block ×3, first 2 shown]
	s_min_u32 s28, s20, s9
	s_addk_i32 s8, 0x400
	s_or_b32 s4, s0, s4
	s_min_u32 s7, s20, s5
	s_add_i32 s5, s5, s21
	s_cmp_eq_u32 s4, -1
	s_cselect_b32 s4, s5, s8
	s_cselect_b32 s5, s7, s27
	s_min_u32 s4, s4, s20
	s_mov_b32 s27, s1
	s_sub_i32 s33, s5, s26
	s_sub_i32 s34, s4, s28
	s_lshl_b64 s[8:9], s[26:27], 2
	s_add_u32 s5, s12, s8
	s_mov_b32 s29, s1
	s_addc_u32 s7, s13, s9
	s_lshl_b64 s[8:9], s[28:29], 2
	s_add_u32 s4, s12, s8
	v_mov_b32_e32 v10, 0
	global_load_dword v1, v10, s[2:3] offset:14
	s_addc_u32 s8, s13, s9
	s_cmp_lt_u32 s6, s10
	s_cselect_b32 s1, 12, 18
	s_add_u32 s2, s2, s1
	s_addc_u32 s3, s3, 0
	global_load_ushort v2, v10, s[2:3]
	s_cmp_eq_u32 s0, s11
	v_cmp_gt_u32_e32 vcc, s33, v0
	v_lshlrev_b32_e32 v13, 2, v0
	s_waitcnt vmcnt(1)
	v_lshrrev_b32_e32 v3, 16, v1
	v_and_b32_e32 v1, 0xffff, v1
	v_mul_lo_u32 v1, v1, v3
	s_waitcnt vmcnt(0)
	v_mul_lo_u32 v11, v1, v2
	v_add_u32_e32 v9, v11, v0
	s_cbranch_scc1 .LBB8_3
; %bb.2:
	v_mov_b32_e32 v1, s7
	v_add_co_u32_e64 v3, s[0:1], s5, v13
	v_subrev_u32_e32 v2, s33, v0
	v_addc_co_u32_e64 v1, s[0:1], 0, v1, s[0:1]
	v_lshlrev_b32_e32 v2, 2, v2
	v_mov_b32_e32 v4, s8
	v_add_co_u32_e64 v5, s[0:1], s4, v2
	v_addc_co_u32_e64 v2, s[0:1], 0, v4, s[0:1]
	v_cndmask_b32_e32 v2, v2, v1, vcc
	v_cndmask_b32_e32 v1, v5, v3, vcc
	global_load_dword v1, v[1:2], off
	v_lshlrev_b64 v[2:3], 2, v[9:10]
	v_mov_b32_e32 v4, s7
	v_add_co_u32_e32 v5, vcc, s5, v2
	v_addc_co_u32_e32 v4, vcc, v4, v3, vcc
	v_subrev_co_u32_e32 v2, vcc, s33, v9
	v_mov_b32_e32 v3, v10
	v_lshlrev_b64 v[2:3], 2, v[2:3]
	v_mov_b32_e32 v6, s8
	v_add_co_u32_e64 v2, s[0:1], s4, v2
	v_addc_co_u32_e64 v3, s[0:1], v6, v3, s[0:1]
	v_cndmask_b32_e32 v3, v3, v4, vcc
	v_cndmask_b32_e32 v2, v2, v5, vcc
	v_add_u32_e32 v4, v9, v11
	v_mov_b32_e32 v5, v10
	v_lshlrev_b64 v[5:6], 2, v[4:5]
	global_load_dword v2, v[2:3], off
	v_mov_b32_e32 v3, s7
	v_add_co_u32_e32 v7, vcc, s5, v5
	v_addc_co_u32_e32 v3, vcc, v3, v6, vcc
	v_subrev_co_u32_e32 v5, vcc, s33, v4
	v_mov_b32_e32 v6, v10
	v_lshlrev_b64 v[5:6], 2, v[5:6]
	v_mov_b32_e32 v8, s8
	v_add_co_u32_e64 v5, s[0:1], s4, v5
	v_addc_co_u32_e64 v6, s[0:1], v8, v6, s[0:1]
	v_cndmask_b32_e32 v6, v6, v3, vcc
	v_cndmask_b32_e32 v5, v5, v7, vcc
	global_load_dword v3, v[5:6], off
	v_add_u32_e32 v5, v4, v11
	v_mov_b32_e32 v6, v10
	v_lshlrev_b64 v[6:7], 2, v[5:6]
	v_mov_b32_e32 v4, s7
	v_add_co_u32_e32 v8, vcc, s5, v6
	v_addc_co_u32_e32 v4, vcc, v4, v7, vcc
	v_subrev_co_u32_e32 v6, vcc, s33, v5
	v_mov_b32_e32 v7, v10
	v_lshlrev_b64 v[6:7], 2, v[6:7]
	v_mov_b32_e32 v12, s8
	v_add_co_u32_e64 v6, s[0:1], s4, v6
	v_addc_co_u32_e64 v7, s[0:1], v12, v7, s[0:1]
	v_cndmask_b32_e32 v7, v7, v4, vcc
	v_cndmask_b32_e32 v6, v6, v8, vcc
	global_load_dword v4, v[6:7], off
	v_add_u32_e32 v6, v5, v11
	v_mov_b32_e32 v7, v10
	v_lshlrev_b64 v[7:8], 2, v[6:7]
	;; [unrolled: 15-line block ×4, first 2 shown]
	v_mov_b32_e32 v12, s7
	v_add_co_u32_e32 v15, vcc, s5, v7
	v_addc_co_u32_e32 v12, vcc, v12, v8, vcc
	v_subrev_co_u32_e32 v7, vcc, s33, v14
	v_mov_b32_e32 v8, v10
	v_lshlrev_b64 v[7:8], 2, v[7:8]
	v_mov_b32_e32 v16, s8
	v_add_co_u32_e64 v7, s[0:1], s4, v7
	v_cndmask_b32_e32 v7, v7, v15, vcc
	v_add_u32_e32 v14, v14, v11
	v_mov_b32_e32 v15, v10
	v_addc_co_u32_e64 v8, s[0:1], v16, v8, s[0:1]
	v_lshlrev_b64 v[15:16], 2, v[14:15]
	v_cndmask_b32_e32 v8, v8, v12, vcc
	global_load_dword v7, v[7:8], off
	v_mov_b32_e32 v8, s7
	v_add_co_u32_e32 v12, vcc, s5, v15
	v_addc_co_u32_e32 v8, vcc, v8, v16, vcc
	v_subrev_co_u32_e32 v14, vcc, s33, v14
	v_mov_b32_e32 v15, v10
	v_lshlrev_b64 v[14:15], 2, v[14:15]
	v_mov_b32_e32 v10, s8
	v_add_co_u32_e64 v14, s[0:1], s4, v14
	v_addc_co_u32_e64 v10, s[0:1], v10, v15, s[0:1]
	v_cndmask_b32_e32 v15, v10, v8, vcc
	v_cndmask_b32_e32 v14, v14, v12, vcc
	global_load_dword v8, v[14:15], off
	s_add_i32 s21, s34, s33
	s_cbranch_execz .LBB8_4
	s_branch .LBB8_21
.LBB8_3:
                                        ; implicit-def: $vgpr1_vgpr2_vgpr3_vgpr4_vgpr5_vgpr6_vgpr7_vgpr8
                                        ; implicit-def: $sgpr21
.LBB8_4:
	s_add_i32 s21, s34, s33
	s_waitcnt vmcnt(7)
	v_mov_b32_e32 v1, 0
	v_cmp_gt_u32_e32 vcc, s21, v0
	s_waitcnt vmcnt(6)
	v_mov_b32_e32 v2, v1
	s_waitcnt vmcnt(5)
	v_mov_b32_e32 v3, v1
	;; [unrolled: 2-line block ×7, first 2 shown]
	s_and_saveexec_b64 s[0:1], vcc
	s_cbranch_execz .LBB8_6
; %bb.5:
	v_mov_b32_e32 v2, s7
	v_add_co_u32_e32 v4, vcc, s5, v13
	v_subrev_u32_e32 v3, s33, v0
	v_addc_co_u32_e32 v2, vcc, 0, v2, vcc
	v_lshlrev_b32_e32 v3, 2, v3
	v_mov_b32_e32 v5, s8
	v_add_co_u32_e32 v6, vcc, s4, v3
	v_addc_co_u32_e32 v3, vcc, 0, v5, vcc
	v_cmp_gt_u32_e32 vcc, s33, v0
	v_cndmask_b32_e32 v3, v3, v2, vcc
	v_cndmask_b32_e32 v2, v6, v4, vcc
	global_load_dword v14, v[2:3], off
	v_mov_b32_e32 v15, v1
	v_mov_b32_e32 v16, v1
	;; [unrolled: 1-line block ×7, first 2 shown]
	s_waitcnt vmcnt(0)
	v_mov_b32_e32 v1, v14
	v_mov_b32_e32 v2, v15
	;; [unrolled: 1-line block ×8, first 2 shown]
.LBB8_6:
	s_or_b64 exec, exec, s[0:1]
	v_cmp_gt_u32_e32 vcc, s21, v9
	s_and_saveexec_b64 s[2:3], vcc
	s_cbranch_execz .LBB8_8
; %bb.7:
	v_mov_b32_e32 v10, 0
	v_lshlrev_b64 v[14:15], 2, v[9:10]
	v_mov_b32_e32 v2, s7
	v_add_co_u32_e32 v12, vcc, s5, v14
	v_addc_co_u32_e32 v2, vcc, v2, v15, vcc
	v_subrev_co_u32_e32 v14, vcc, s33, v9
	v_mov_b32_e32 v15, v10
	v_lshlrev_b64 v[14:15], 2, v[14:15]
	v_mov_b32_e32 v10, s8
	v_add_co_u32_e64 v14, s[0:1], s4, v14
	v_addc_co_u32_e64 v10, s[0:1], v10, v15, s[0:1]
	v_cndmask_b32_e32 v15, v10, v2, vcc
	v_cndmask_b32_e32 v14, v14, v12, vcc
	global_load_dword v2, v[14:15], off
.LBB8_8:
	s_or_b64 exec, exec, s[2:3]
	v_add_u32_e32 v9, v9, v11
	v_cmp_gt_u32_e32 vcc, s21, v9
	s_and_saveexec_b64 s[2:3], vcc
	s_cbranch_execz .LBB8_10
; %bb.9:
	v_mov_b32_e32 v10, 0
	v_lshlrev_b64 v[14:15], 2, v[9:10]
	v_mov_b32_e32 v3, s7
	v_add_co_u32_e32 v12, vcc, s5, v14
	v_addc_co_u32_e32 v3, vcc, v3, v15, vcc
	v_subrev_co_u32_e32 v14, vcc, s33, v9
	v_mov_b32_e32 v15, v10
	v_lshlrev_b64 v[14:15], 2, v[14:15]
	v_mov_b32_e32 v10, s8
	v_add_co_u32_e64 v14, s[0:1], s4, v14
	v_addc_co_u32_e64 v10, s[0:1], v10, v15, s[0:1]
	v_cndmask_b32_e32 v15, v10, v3, vcc
	v_cndmask_b32_e32 v14, v14, v12, vcc
	global_load_dword v3, v[14:15], off
.LBB8_10:
	s_or_b64 exec, exec, s[2:3]
	v_add_u32_e32 v9, v9, v11
	;; [unrolled: 21-line block ×6, first 2 shown]
	v_cmp_gt_u32_e32 vcc, s21, v9
	s_and_saveexec_b64 s[2:3], vcc
	s_cbranch_execz .LBB8_20
; %bb.19:
	v_mov_b32_e32 v10, 0
	v_lshlrev_b64 v[11:12], 2, v[9:10]
	v_mov_b32_e32 v8, s7
	v_add_co_u32_e32 v11, vcc, s5, v11
	v_addc_co_u32_e32 v12, vcc, v8, v12, vcc
	v_subrev_co_u32_e32 v9, vcc, s33, v9
	v_lshlrev_b64 v[8:9], 2, v[9:10]
	v_mov_b32_e32 v10, s8
	v_add_co_u32_e64 v8, s[0:1], s4, v8
	v_addc_co_u32_e64 v9, s[0:1], v10, v9, s[0:1]
	v_cndmask_b32_e32 v9, v9, v12, vcc
	v_cndmask_b32_e32 v8, v8, v11, vcc
	global_load_dword v8, v[8:9], off
.LBB8_20:
	s_or_b64 exec, exec, s[2:3]
.LBB8_21:
	v_lshlrev_b32_e32 v14, 3, v0
	v_min_u32_e32 v10, s21, v14
	v_sub_u32_e64 v9, v10, s34 clamp
	v_min_u32_e32 v11, s33, v10
	v_cmp_lt_u32_e32 vcc, v9, v11
	s_waitcnt vmcnt(0)
	ds_write2st64_b32 v13, v1, v2 offset1:2
	ds_write2st64_b32 v13, v3, v4 offset0:4 offset1:6
	ds_write2st64_b32 v13, v5, v6 offset0:8 offset1:10
	;; [unrolled: 1-line block ×3, first 2 shown]
	s_waitcnt lgkmcnt(0)
	s_barrier
	s_and_saveexec_b64 s[0:1], vcc
	s_cbranch_execz .LBB8_25
; %bb.22:
	v_lshlrev_b32_e32 v12, 2, v10
	v_lshl_add_u32 v12, s33, 2, v12
	s_mov_b64 s[2:3], 0
.LBB8_23:                               ; =>This Inner Loop Header: Depth=1
	v_add_u32_e32 v15, v11, v9
	v_lshrrev_b32_e32 v15, 1, v15
	v_not_b32_e32 v16, v15
	v_lshlrev_b32_e32 v17, 2, v15
	v_lshl_add_u32 v16, v16, 2, v12
	ds_read_b32 v17, v17
	ds_read_b32 v16, v16
	v_add_u32_e32 v18, 1, v15
	s_waitcnt lgkmcnt(1)
	v_and_b32_e32 v17, s23, v17
	s_waitcnt lgkmcnt(0)
	v_and_b32_e32 v16, s23, v16
	v_cmp_gt_i32_e32 vcc, v16, v17
	v_cndmask_b32_e32 v11, v11, v15, vcc
	v_cndmask_b32_e32 v9, v18, v9, vcc
	v_cmp_ge_u32_e32 vcc, v9, v11
	s_or_b64 s[2:3], vcc, s[2:3]
	s_andn2_b64 exec, exec, s[2:3]
	s_cbranch_execnz .LBB8_23
; %bb.24:
	s_or_b64 exec, exec, s[2:3]
.LBB8_25:
	s_or_b64 exec, exec, s[0:1]
	v_sub_u32_e32 v10, v10, v9
	v_add_u32_e32 v10, s33, v10
	v_cmp_ge_u32_e32 vcc, s33, v9
	v_cmp_ge_u32_e64 s[0:1], s21, v10
	s_or_b64 s[0:1], vcc, s[0:1]
	v_mov_b32_e32 v15, 0
	v_mov_b32_e32 v16, 0
	;; [unrolled: 1-line block ×8, first 2 shown]
	s_and_saveexec_b64 s[30:31], s[0:1]
	s_cbranch_execz .LBB8_31
; %bb.26:
	v_cmp_gt_u32_e32 vcc, s33, v9
                                        ; implicit-def: $vgpr1
	s_and_saveexec_b64 s[0:1], vcc
; %bb.27:
	v_lshlrev_b32_e32 v1, 2, v9
	ds_read_b32 v1, v1
; %bb.28:
	s_or_b64 exec, exec, s[0:1]
	v_cmp_le_u32_e64 s[0:1], s21, v10
	v_cmp_gt_u32_e64 s[2:3], s21, v10
                                        ; implicit-def: $vgpr2
	s_and_saveexec_b64 s[4:5], s[2:3]
; %bb.29:
	v_lshlrev_b32_e32 v2, 2, v10
	ds_read_b32 v2, v2
; %bb.30:
	s_or_b64 exec, exec, s[4:5]
	s_waitcnt lgkmcnt(0)
	v_and_b32_e32 v3, s23, v2
	v_and_b32_e32 v4, s23, v1
	v_cmp_le_i32_e64 s[2:3], v3, v4
	s_and_b64 s[2:3], vcc, s[2:3]
	s_or_b64 vcc, s[0:1], s[2:3]
	v_mov_b32_e32 v4, s21
	v_mov_b32_e32 v5, s33
	v_cndmask_b32_e32 v22, v10, v9, vcc
	v_cndmask_b32_e32 v3, v4, v5, vcc
	v_add_u32_e32 v6, 1, v22
	v_add_u32_e32 v3, -1, v3
	v_min_u32_e32 v3, v6, v3
	v_lshlrev_b32_e32 v3, 2, v3
	ds_read_b32 v3, v3
	v_cndmask_b32_e32 v8, v6, v10, vcc
	v_cndmask_b32_e32 v6, v9, v6, vcc
	v_cmp_gt_u32_e64 s[2:3], s33, v6
	v_cmp_le_u32_e64 s[0:1], s21, v8
	s_waitcnt lgkmcnt(0)
	v_cndmask_b32_e32 v7, v3, v2, vcc
	v_cndmask_b32_e32 v3, v1, v3, vcc
	v_and_b32_e32 v9, s23, v7
	v_and_b32_e32 v10, s23, v3
	v_cmp_le_i32_e64 s[4:5], v9, v10
	s_and_b64 s[2:3], s[2:3], s[4:5]
	s_or_b64 s[0:1], s[0:1], s[2:3]
	v_cndmask_b32_e64 v21, v8, v6, s[0:1]
	v_cndmask_b32_e64 v9, v4, v5, s[0:1]
	v_add_u32_e32 v10, 1, v21
	v_add_u32_e32 v9, -1, v9
	v_min_u32_e32 v9, v10, v9
	v_lshlrev_b32_e32 v9, 2, v9
	ds_read_b32 v9, v9
	v_cndmask_b32_e64 v8, v10, v8, s[0:1]
	v_cndmask_b32_e64 v6, v6, v10, s[0:1]
	v_cmp_gt_u32_e64 s[4:5], s33, v6
	v_cmp_le_u32_e64 s[2:3], s21, v8
	s_waitcnt lgkmcnt(0)
	v_cndmask_b32_e64 v11, v9, v7, s[0:1]
	v_cndmask_b32_e64 v9, v3, v9, s[0:1]
	v_and_b32_e32 v10, s23, v11
	v_and_b32_e32 v12, s23, v9
	v_cmp_le_i32_e64 s[6:7], v10, v12
	s_and_b64 s[4:5], s[4:5], s[6:7]
	s_or_b64 s[2:3], s[2:3], s[4:5]
	v_cndmask_b32_e64 v20, v8, v6, s[2:3]
	v_cndmask_b32_e64 v10, v4, v5, s[2:3]
	v_add_u32_e32 v12, 1, v20
	v_add_u32_e32 v10, -1, v10
	v_min_u32_e32 v10, v12, v10
	v_lshlrev_b32_e32 v10, 2, v10
	ds_read_b32 v10, v10
	v_cndmask_b32_e64 v8, v12, v8, s[2:3]
	v_cndmask_b32_e64 v6, v6, v12, s[2:3]
	v_cmp_gt_u32_e64 s[6:7], s33, v6
	v_cmp_le_u32_e64 s[4:5], s21, v8
	s_waitcnt lgkmcnt(0)
	v_cndmask_b32_e64 v15, v10, v11, s[2:3]
	v_cndmask_b32_e64 v10, v9, v10, s[2:3]
	;; [unrolled: 19-line block ×4, first 2 shown]
	v_and_b32_e32 v16, s23, v24
	v_and_b32_e32 v17, s23, v25
	v_cmp_le_i32_e64 s[12:13], v16, v17
	s_and_b64 s[10:11], s[10:11], s[12:13]
	s_or_b64 s[8:9], s[8:9], s[10:11]
	v_cndmask_b32_e64 v17, v8, v6, s[8:9]
	v_cndmask_b32_e64 v16, v4, v5, s[8:9]
	v_add_u32_e32 v26, 1, v17
	v_add_u32_e32 v16, -1, v16
	v_min_u32_e32 v16, v26, v16
	v_lshlrev_b32_e32 v16, 2, v16
	ds_read_b32 v16, v16
	v_cndmask_b32_e32 v1, v2, v1, vcc
	v_cndmask_b32_e64 v2, v7, v3, s[0:1]
	v_cndmask_b32_e64 v3, v11, v9, s[2:3]
	;; [unrolled: 1-line block ×3, first 2 shown]
	s_waitcnt lgkmcnt(0)
	v_cndmask_b32_e64 v9, v16, v24, s[8:9]
	v_cndmask_b32_e64 v11, v25, v16, s[8:9]
	;; [unrolled: 1-line block ×3, first 2 shown]
	v_and_b32_e32 v6, s23, v9
	v_and_b32_e32 v7, s23, v11
	v_cmp_gt_u32_e64 s[0:1], s33, v26
	v_cmp_le_i32_e64 s[2:3], v6, v7
	v_cmp_le_u32_e32 vcc, s21, v8
	s_and_b64 s[0:1], s[0:1], s[2:3]
	s_or_b64 vcc, vcc, s[0:1]
	v_cndmask_b32_e32 v16, v8, v26, vcc
	v_cndmask_b32_e32 v4, v4, v5, vcc
	v_add_u32_e32 v27, 1, v16
	v_add_u32_e32 v4, -1, v4
	v_min_u32_e32 v4, v27, v4
	v_lshlrev_b32_e32 v4, 2, v4
	ds_read_b32 v28, v4
	v_cndmask_b32_e64 v4, v15, v10, s[4:5]
	v_cndmask_b32_e32 v7, v9, v11, vcc
	v_cndmask_b32_e64 v5, v23, v12, s[6:7]
	v_cndmask_b32_e32 v8, v27, v8, vcc
	s_waitcnt lgkmcnt(0)
	v_cndmask_b32_e32 v9, v28, v9, vcc
	v_cndmask_b32_e32 v10, v11, v28, vcc
	v_cndmask_b32_e32 v11, v26, v27, vcc
	v_and_b32_e32 v12, s23, v9
	v_and_b32_e32 v15, s23, v10
	v_cmp_gt_u32_e64 s[0:1], s33, v11
	v_cmp_le_i32_e64 s[2:3], v12, v15
	v_cmp_le_u32_e32 vcc, s21, v8
	s_and_b64 s[0:1], s[0:1], s[2:3]
	s_or_b64 vcc, vcc, s[0:1]
	v_cndmask_b32_e64 v6, v24, v25, s[8:9]
	v_cndmask_b32_e32 v15, v8, v11, vcc
	v_cndmask_b32_e32 v8, v9, v10, vcc
.LBB8_31:
	s_or_b64 exec, exec, s[30:31]
	s_lshl_b64 s[0:1], s[26:27], 1
	s_add_u32 s8, s16, s0
	s_addc_u32 s9, s17, s1
	s_lshl_b64 s[0:1], s[28:29], 1
	s_add_u32 s6, s16, s0
	v_cndmask_b32_e64 v9, 0, 1, s[24:25]
	s_addc_u32 s7, s17, s1
	v_cmp_gt_u32_e64 s[4:5], s33, v0
	v_cmp_le_u32_e64 s[2:3], s33, v0
	v_cmp_ne_u32_e64 s[0:1], 1, v9
	s_andn2_b64 vcc, exec, s[24:25]
	v_lshlrev_b32_e32 v12, 1, v0
	s_barrier
	s_cbranch_vccnz .LBB8_33
; %bb.32:
	v_mov_b32_e32 v9, s9
	v_add_co_u32_e32 v11, vcc, s8, v12
	v_subrev_u32_e32 v10, s33, v0
	v_addc_co_u32_e32 v9, vcc, 0, v9, vcc
	v_lshlrev_b32_e32 v10, 1, v10
	v_mov_b32_e32 v23, s7
	v_add_co_u32_e32 v24, vcc, s6, v10
	v_addc_co_u32_e32 v10, vcc, 0, v23, vcc
	v_cndmask_b32_e64 v10, v10, v9, s[4:5]
	v_cndmask_b32_e64 v9, v24, v11, s[4:5]
	global_load_ushort v11, v[9:10], off
	v_or_b32_e32 v9, 0x80, v0
	v_subrev_u32_e32 v10, s33, v9
	v_min_u32_e32 v10, v9, v10
	v_cmp_gt_u32_e32 vcc, s33, v9
	v_mov_b32_e32 v26, s6
	v_mov_b32_e32 v27, s8
	;; [unrolled: 1-line block ×4, first 2 shown]
	v_cndmask_b32_e32 v9, v26, v27, vcc
	v_lshlrev_b32_e32 v10, 1, v10
	v_cndmask_b32_e32 v23, v24, v25, vcc
	v_add_co_u32_e32 v9, vcc, v9, v10
	v_addc_co_u32_e32 v10, vcc, 0, v23, vcc
	global_load_ushort v23, v[9:10], off
	v_or_b32_e32 v9, 0x100, v0
	v_subrev_u32_e32 v10, s33, v9
	v_min_u32_e32 v10, v9, v10
	v_cmp_gt_u32_e32 vcc, s33, v9
	v_cndmask_b32_e32 v9, v26, v27, vcc
	v_lshlrev_b32_e32 v10, 1, v10
	v_cndmask_b32_e32 v28, v24, v25, vcc
	v_add_co_u32_e32 v9, vcc, v9, v10
	v_addc_co_u32_e32 v10, vcc, 0, v28, vcc
	global_load_ushort v28, v[9:10], off
	v_or_b32_e32 v9, 0x180, v0
	v_subrev_u32_e32 v10, s33, v9
	v_min_u32_e32 v10, v9, v10
	v_cmp_gt_u32_e32 vcc, s33, v9
	;; [unrolled: 10-line block ×5, first 2 shown]
	v_cndmask_b32_e32 v9, v26, v27, vcc
	v_lshlrev_b32_e32 v10, 1, v10
	v_cndmask_b32_e32 v32, v24, v25, vcc
	v_add_co_u32_e32 v9, vcc, v9, v10
	v_addc_co_u32_e32 v10, vcc, 0, v32, vcc
	global_load_ushort v9, v[9:10], off
	s_mov_b64 s[4:5], -1
	s_waitcnt vmcnt(6)
	ds_write_b16 v12, v11
	s_waitcnt vmcnt(5)
	ds_write_b16 v12, v23 offset:256
	s_waitcnt vmcnt(4)
	ds_write_b16 v12, v28 offset:512
	s_waitcnt vmcnt(3)
	ds_write_b16 v12, v29 offset:768
	s_waitcnt vmcnt(2)
	ds_write_b16 v12, v30 offset:1024
	s_waitcnt vmcnt(1)
	ds_write_b16 v12, v31 offset:1280
	s_waitcnt vmcnt(0)
	ds_write_b16 v12, v9 offset:1536
	v_or_b32_e32 v23, 0x380, v0
	v_subrev_u32_e32 v9, s33, v23
	v_cmp_gt_u32_e32 vcc, s33, v23
	v_min_u32_e32 v11, v23, v9
	v_cndmask_b32_e32 v10, v24, v25, vcc
	v_cndmask_b32_e32 v9, v26, v27, vcc
	s_cbranch_execz .LBB8_34
	s_branch .LBB8_67
.LBB8_33:
	s_mov_b64 s[4:5], 0
                                        ; implicit-def: $vgpr23
                                        ; implicit-def: $vgpr9_vgpr10
                                        ; implicit-def: $vgpr11
.LBB8_34:
	s_and_saveexec_b64 s[4:5], s[2:3]
	s_xor_b64 s[2:3], exec, s[4:5]
	s_cbranch_execz .LBB8_38
; %bb.35:
	v_subrev_u32_e32 v9, s33, v0
	v_cmp_gt_u32_e32 vcc, s34, v9
	s_and_saveexec_b64 s[4:5], vcc
	s_cbranch_execz .LBB8_37
; %bb.36:
	v_lshlrev_b32_e32 v9, 1, v9
	global_load_ushort v9, v9, s[6:7]
	s_waitcnt vmcnt(0)
	ds_write_b16 v12, v9
.LBB8_37:
	s_or_b64 exec, exec, s[4:5]
.LBB8_38:
	s_andn2_saveexec_b64 s[2:3], s[2:3]
	s_cbranch_execz .LBB8_40
; %bb.39:
	global_load_ushort v9, v12, s[8:9]
	v_sub_u32_e32 v10, v13, v12
	s_waitcnt vmcnt(0)
	ds_write_b16 v10, v9
.LBB8_40:
	s_or_b64 exec, exec, s[2:3]
	v_or_b32_e32 v11, 0x80, v0
	v_mov_b32_e32 v9, s26
	v_cmp_le_u32_e32 vcc, s33, v11
	s_mov_b64 s[4:5], -1
	v_mov_b32_e32 v10, s27
	s_and_saveexec_b64 s[2:3], vcc
; %bb.41:
	v_subrev_u32_e32 v11, s33, v11
	v_cmp_gt_u32_e32 vcc, s34, v11
	v_mov_b32_e32 v9, s28
	v_mov_b32_e32 v10, s29
	s_orn2_b64 s[4:5], vcc, exec
; %bb.42:
	s_or_b64 exec, exec, s[2:3]
	s_and_saveexec_b64 s[2:3], s[4:5]
	s_cbranch_execz .LBB8_44
; %bb.43:
	v_lshlrev_b64 v[9:10], 1, v[9:10]
	v_mov_b32_e32 v23, s17
	v_add_co_u32_e32 v9, vcc, s16, v9
	v_addc_co_u32_e32 v10, vcc, v23, v10, vcc
	v_lshlrev_b32_e32 v11, 1, v11
	v_add_co_u32_e32 v9, vcc, v9, v11
	v_addc_co_u32_e32 v10, vcc, 0, v10, vcc
	global_load_ushort v9, v[9:10], off
	v_sub_u32_e32 v10, v13, v12
	s_waitcnt vmcnt(0)
	ds_write_b16 v10, v9 offset:256
.LBB8_44:
	s_or_b64 exec, exec, s[2:3]
	v_or_b32_e32 v11, 0x100, v0
	v_mov_b32_e32 v9, s26
	v_cmp_le_u32_e32 vcc, s33, v11
	s_mov_b64 s[4:5], -1
	v_mov_b32_e32 v10, s27
	s_and_saveexec_b64 s[2:3], vcc
; %bb.45:
	v_subrev_u32_e32 v11, s33, v11
	v_cmp_gt_u32_e32 vcc, s34, v11
	v_mov_b32_e32 v9, s28
	v_mov_b32_e32 v10, s29
	s_orn2_b64 s[4:5], vcc, exec
; %bb.46:
	s_or_b64 exec, exec, s[2:3]
	s_and_saveexec_b64 s[2:3], s[4:5]
	s_cbranch_execz .LBB8_48
; %bb.47:
	v_lshlrev_b64 v[9:10], 1, v[9:10]
	v_mov_b32_e32 v23, s17
	v_add_co_u32_e32 v9, vcc, s16, v9
	v_addc_co_u32_e32 v10, vcc, v23, v10, vcc
	v_lshlrev_b32_e32 v11, 1, v11
	v_add_co_u32_e32 v9, vcc, v9, v11
	v_addc_co_u32_e32 v10, vcc, 0, v10, vcc
	global_load_ushort v9, v[9:10], off
	v_sub_u32_e32 v10, v13, v12
	s_waitcnt vmcnt(0)
	ds_write_b16 v10, v9 offset:512
.LBB8_48:
	;; [unrolled: 30-line block ×5, first 2 shown]
	s_or_b64 exec, exec, s[2:3]
	v_or_b32_e32 v11, 0x300, v0
	v_mov_b32_e32 v9, s26
	v_cmp_le_u32_e32 vcc, s33, v11
	s_mov_b64 s[2:3], -1
	v_mov_b32_e32 v10, s27
	s_and_saveexec_b64 s[4:5], vcc
; %bb.61:
	v_subrev_u32_e32 v11, s33, v11
	v_cmp_gt_u32_e32 vcc, s34, v11
	v_mov_b32_e32 v9, s28
	v_mov_b32_e32 v10, s29
	s_orn2_b64 s[2:3], vcc, exec
; %bb.62:
	s_or_b64 exec, exec, s[4:5]
	s_and_saveexec_b64 s[4:5], s[2:3]
	s_cbranch_execz .LBB8_64
; %bb.63:
	v_lshlrev_b64 v[9:10], 1, v[9:10]
	v_mov_b32_e32 v23, s17
	v_add_co_u32_e32 v9, vcc, s16, v9
	v_addc_co_u32_e32 v10, vcc, v23, v10, vcc
	v_lshlrev_b32_e32 v11, 1, v11
	v_add_co_u32_e32 v9, vcc, v9, v11
	v_addc_co_u32_e32 v10, vcc, 0, v10, vcc
	global_load_ushort v9, v[9:10], off
	s_waitcnt vmcnt(0)
	ds_write_b16 v12, v9 offset:1536
.LBB8_64:
	s_or_b64 exec, exec, s[4:5]
	v_or_b32_e32 v23, 0x380, v0
	v_mov_b32_e32 v10, s9
	v_cmp_le_u32_e32 vcc, s33, v23
	s_mov_b64 s[4:5], -1
	v_mov_b32_e32 v9, s8
	v_mov_b32_e32 v11, v23
	s_and_saveexec_b64 s[2:3], vcc
; %bb.65:
	v_subrev_u32_e32 v11, s33, v23
	v_cmp_gt_u32_e32 vcc, s34, v11
	v_mov_b32_e32 v10, s7
	v_mov_b32_e32 v9, s6
	s_orn2_b64 s[4:5], vcc, exec
; %bb.66:
	s_or_b64 exec, exec, s[2:3]
.LBB8_67:
	s_and_saveexec_b64 s[2:3], s[4:5]
	s_cbranch_execz .LBB8_69
; %bb.68:
	v_mov_b32_e32 v12, 0
	v_lshlrev_b64 v[11:12], 1, v[11:12]
	v_add_co_u32_e32 v9, vcc, v9, v11
	v_addc_co_u32_e32 v10, vcc, v10, v12, vcc
	global_load_ushort v9, v[9:10], off
	v_lshlrev_b32_e32 v10, 1, v23
	s_waitcnt vmcnt(0)
	ds_write_b16 v10, v9
.LBB8_69:
	s_or_b64 exec, exec, s[2:3]
	s_and_b64 vcc, exec, s[0:1]
	v_add_u32_e32 v9, s22, v14
	s_waitcnt lgkmcnt(0)
	s_barrier
	s_cbranch_vccnz .LBB8_71
; %bb.70:
	v_mov_b32_e32 v10, 0
	v_lshlrev_b64 v[11:12], 1, v[9:10]
	v_mov_b32_e32 v24, s19
	v_add_co_u32_e32 v11, vcc, s18, v11
	v_lshlrev_b32_e32 v23, 1, v22
	v_addc_co_u32_e32 v12, vcc, v24, v12, vcc
	v_lshlrev_b32_e32 v24, 1, v21
	v_lshlrev_b32_e32 v25, 1, v20
	;; [unrolled: 1-line block ×6, first 2 shown]
	ds_read_u16 v23, v23
	ds_read_u16 v30, v24
	;; [unrolled: 1-line block ×7, first 2 shown]
	s_mov_b32 s0, 0x5040100
	s_waitcnt lgkmcnt(3)
	v_perm_b32 v24, v25, v24, s0
	v_perm_b32 v23, v30, v23, s0
	s_waitcnt lgkmcnt(1)
	v_perm_b32 v25, v27, v26, s0
	s_mov_b64 s[0:1], -1
	s_waitcnt lgkmcnt(0)
	global_store_short v[11:12], v28, off offset:12
	global_store_dwordx3 v[11:12], v[23:25], off
	s_cbranch_execz .LBB8_72
	s_branch .LBB8_89
.LBB8_71:
	s_mov_b64 s[0:1], 0
.LBB8_72:
	v_cmp_gt_u32_e32 vcc, s21, v14
	s_and_saveexec_b64 s[2:3], vcc
	s_cbranch_execz .LBB8_74
; %bb.73:
	v_lshlrev_b32_e32 v12, 1, v22
	v_mov_b32_e32 v10, 0
	ds_read_u16 v12, v12
	v_lshlrev_b64 v[10:11], 1, v[9:10]
	v_mov_b32_e32 v22, s19
	v_add_co_u32_e32 v10, vcc, s18, v10
	v_addc_co_u32_e32 v11, vcc, v22, v11, vcc
	s_waitcnt lgkmcnt(0)
	global_store_short v[10:11], v12, off
.LBB8_74:
	s_or_b64 exec, exec, s[2:3]
	v_or_b32_e32 v10, 1, v14
	v_cmp_gt_u32_e32 vcc, s21, v10
	s_and_saveexec_b64 s[2:3], vcc
	s_cbranch_execz .LBB8_76
; %bb.75:
	v_lshlrev_b32_e32 v12, 1, v21
	v_mov_b32_e32 v10, 0
	ds_read_u16 v12, v12
	v_lshlrev_b64 v[10:11], 1, v[9:10]
	v_mov_b32_e32 v21, s19
	v_add_co_u32_e32 v10, vcc, s18, v10
	v_addc_co_u32_e32 v11, vcc, v21, v11, vcc
	s_waitcnt lgkmcnt(0)
	global_store_short v[10:11], v12, off offset:2
.LBB8_76:
	s_or_b64 exec, exec, s[2:3]
	v_or_b32_e32 v10, 2, v14
	v_cmp_gt_u32_e32 vcc, s21, v10
	s_and_saveexec_b64 s[2:3], vcc
	s_cbranch_execz .LBB8_78
; %bb.77:
	v_lshlrev_b32_e32 v12, 1, v20
	v_mov_b32_e32 v10, 0
	ds_read_u16 v12, v12
	v_lshlrev_b64 v[10:11], 1, v[9:10]
	v_mov_b32_e32 v20, s19
	v_add_co_u32_e32 v10, vcc, s18, v10
	v_addc_co_u32_e32 v11, vcc, v20, v11, vcc
	s_waitcnt lgkmcnt(0)
	global_store_short v[10:11], v12, off offset:4
.LBB8_78:
	;; [unrolled: 16-line block ×6, first 2 shown]
	s_or_b64 exec, exec, s[2:3]
	v_or_b32_e32 v10, 7, v14
	v_cmp_gt_u32_e32 vcc, s21, v10
	s_and_saveexec_b64 s[2:3], vcc
; %bb.87:
	v_mov_b32_e32 v10, 0
	s_or_b64 s[0:1], s[0:1], exec
; %bb.88:
	s_or_b64 exec, exec, s[2:3]
.LBB8_89:
	s_and_saveexec_b64 s[2:3], s[0:1]
	s_cbranch_execz .LBB8_91
; %bb.90:
	v_lshlrev_b32_e32 v11, 1, v15
	ds_read_u16 v11, v11
	v_lshlrev_b64 v[9:10], 1, v[9:10]
	v_mov_b32_e32 v12, s19
	v_add_co_u32_e32 v9, vcc, s18, v9
	v_addc_co_u32_e32 v10, vcc, v12, v10, vcc
	s_waitcnt lgkmcnt(0)
	global_store_short v[9:10], v11, off offset:14
.LBB8_91:
	s_or_b64 exec, exec, s[2:3]
	v_and_b32_e32 v9, 0x7c, v0
	v_lshl_add_u32 v9, v14, 2, v9
	s_waitcnt vmcnt(0)
	s_barrier
	s_barrier
	ds_write2_b32 v9, v1, v2 offset1:1
	ds_write2_b32 v9, v3, v4 offset0:2 offset1:3
	ds_write2_b32 v9, v5, v6 offset0:4 offset1:5
	;; [unrolled: 1-line block ×3, first 2 shown]
	v_lshrrev_b32_e32 v1, 3, v0
	v_and_b32_e32 v1, 12, v1
	v_or_b32_e32 v10, 0x80, v0
	v_add_u32_e32 v11, v1, v13
	v_lshrrev_b32_e32 v1, 3, v10
	v_and_b32_e32 v1, 28, v1
	v_or_b32_e32 v9, 0x100, v0
	v_add_u32_e32 v12, v1, v13
	v_lshrrev_b32_e32 v1, 3, v9
	v_and_b32_e32 v1, 44, v1
	v_or_b32_e32 v8, 0x180, v0
	v_add_u32_e32 v14, v1, v13
	v_lshrrev_b32_e32 v1, 3, v8
	v_and_b32_e32 v1, 60, v1
	v_or_b32_e32 v6, 0x200, v0
	v_add_u32_e32 v15, v1, v13
	v_lshrrev_b32_e32 v1, 3, v6
	v_and_b32_e32 v1, 0x4c, v1
	v_or_b32_e32 v5, 0x280, v0
	v_add_u32_e32 v16, v1, v13
	v_lshrrev_b32_e32 v1, 3, v5
	v_and_b32_e32 v1, 0x5c, v1
	v_or_b32_e32 v4, 0x300, v0
	s_mov_b32 s23, 0
	v_add_u32_e32 v17, v1, v13
	v_lshrrev_b32_e32 v1, 3, v4
	s_lshl_b64 s[0:1], s[22:23], 2
	v_and_b32_e32 v1, 0x6c, v1
	v_or_b32_e32 v3, 0x380, v0
	s_add_u32 s0, s14, s0
	v_add_u32_e32 v18, v1, v13
	v_lshrrev_b32_e32 v1, 3, v3
	s_addc_u32 s1, s15, s1
	v_and_b32_e32 v1, 0x7c, v1
	v_add_u32_e32 v19, v1, v13
	v_mov_b32_e32 v2, s1
	v_add_co_u32_e32 v1, vcc, s0, v13
	v_addc_co_u32_e32 v2, vcc, 0, v2, vcc
	s_and_b64 vcc, exec, s[24:25]
	s_waitcnt lgkmcnt(0)
	s_cbranch_vccz .LBB8_93
; %bb.92:
	s_barrier
	ds_read_b32 v13, v11
	ds_read_b32 v20, v12 offset:512
	ds_read_b32 v21, v14 offset:1024
	ds_read_b32 v22, v15 offset:1536
	ds_read_b32 v23, v16 offset:2048
	ds_read_b32 v24, v17 offset:2560
	ds_read_b32 v25, v18 offset:3072
	ds_read_b32 v7, v19 offset:3584
	s_waitcnt lgkmcnt(7)
	global_store_dword v[1:2], v13, off
	s_waitcnt lgkmcnt(6)
	global_store_dword v[1:2], v20, off offset:512
	s_waitcnt lgkmcnt(5)
	global_store_dword v[1:2], v21, off offset:1024
	;; [unrolled: 2-line block ×6, first 2 shown]
	s_mov_b64 s[0:1], -1
	s_cbranch_execz .LBB8_94
	s_branch .LBB8_103
.LBB8_93:
	s_mov_b64 s[0:1], 0
                                        ; implicit-def: $vgpr7
.LBB8_94:
	s_waitcnt vmcnt(0) lgkmcnt(0)
	s_barrier
	ds_read_b32 v21, v12 offset:512
	ds_read_b32 v20, v14 offset:1024
	;; [unrolled: 1-line block ×7, first 2 shown]
	s_sub_i32 s2, s20, s22
	v_cmp_gt_u32_e32 vcc, s2, v0
	s_and_saveexec_b64 s[0:1], vcc
	s_cbranch_execnz .LBB8_106
; %bb.95:
	s_or_b64 exec, exec, s[0:1]
	v_cmp_gt_u32_e32 vcc, s2, v10
	s_and_saveexec_b64 s[0:1], vcc
	s_cbranch_execnz .LBB8_107
.LBB8_96:
	s_or_b64 exec, exec, s[0:1]
	v_cmp_gt_u32_e32 vcc, s2, v9
	s_and_saveexec_b64 s[0:1], vcc
	s_cbranch_execnz .LBB8_108
.LBB8_97:
	s_or_b64 exec, exec, s[0:1]
	v_cmp_gt_u32_e32 vcc, s2, v8
	s_and_saveexec_b64 s[0:1], vcc
	s_cbranch_execnz .LBB8_109
.LBB8_98:
	s_or_b64 exec, exec, s[0:1]
	v_cmp_gt_u32_e32 vcc, s2, v6
	s_and_saveexec_b64 s[0:1], vcc
	s_cbranch_execnz .LBB8_110
.LBB8_99:
	s_or_b64 exec, exec, s[0:1]
	v_cmp_gt_u32_e32 vcc, s2, v5
	s_and_saveexec_b64 s[0:1], vcc
	s_cbranch_execnz .LBB8_111
.LBB8_100:
	s_or_b64 exec, exec, s[0:1]
	v_cmp_gt_u32_e32 vcc, s2, v4
	s_and_saveexec_b64 s[0:1], vcc
	s_cbranch_execz .LBB8_102
.LBB8_101:
	s_waitcnt lgkmcnt(1)
	global_store_dword v[1:2], v12, off offset:3072
.LBB8_102:
	s_or_b64 exec, exec, s[0:1]
	v_cmp_gt_u32_e64 s[0:1], s2, v3
.LBB8_103:
	s_and_saveexec_b64 s[2:3], s[0:1]
	s_cbranch_execz .LBB8_105
; %bb.104:
	s_waitcnt lgkmcnt(0)
	global_store_dword v[1:2], v7, off offset:3584
.LBB8_105:
	s_endpgm
.LBB8_106:
	ds_read_b32 v0, v11
	s_waitcnt lgkmcnt(0)
	global_store_dword v[1:2], v0, off
	s_or_b64 exec, exec, s[0:1]
	v_cmp_gt_u32_e32 vcc, s2, v10
	s_and_saveexec_b64 s[0:1], vcc
	s_cbranch_execz .LBB8_96
.LBB8_107:
	s_waitcnt lgkmcnt(6)
	global_store_dword v[1:2], v21, off offset:512
	s_or_b64 exec, exec, s[0:1]
	v_cmp_gt_u32_e32 vcc, s2, v9
	s_and_saveexec_b64 s[0:1], vcc
	s_cbranch_execz .LBB8_97
.LBB8_108:
	s_waitcnt lgkmcnt(5)
	global_store_dword v[1:2], v20, off offset:1024
	s_or_b64 exec, exec, s[0:1]
	v_cmp_gt_u32_e32 vcc, s2, v8
	s_and_saveexec_b64 s[0:1], vcc
	s_cbranch_execz .LBB8_98
.LBB8_109:
	s_waitcnt lgkmcnt(4)
	global_store_dword v[1:2], v15, off offset:1536
	s_or_b64 exec, exec, s[0:1]
	v_cmp_gt_u32_e32 vcc, s2, v6
	s_and_saveexec_b64 s[0:1], vcc
	s_cbranch_execz .LBB8_99
.LBB8_110:
	s_waitcnt lgkmcnt(3)
	global_store_dword v[1:2], v14, off offset:2048
	s_or_b64 exec, exec, s[0:1]
	v_cmp_gt_u32_e32 vcc, s2, v5
	s_and_saveexec_b64 s[0:1], vcc
	s_cbranch_execz .LBB8_100
.LBB8_111:
	s_waitcnt lgkmcnt(2)
	global_store_dword v[1:2], v13, off offset:2560
	s_or_b64 exec, exec, s[0:1]
	v_cmp_gt_u32_e32 vcc, s2, v4
	s_and_saveexec_b64 s[0:1], vcc
	s_cbranch_execnz .LBB8_101
	s_branch .LBB8_102
	.section	.rodata,"a",@progbits
	.p2align	6, 0x0
	.amdhsa_kernel _ZN7rocprim17ROCPRIM_304000_NS6detail35device_block_merge_mergepath_kernelINS1_37wrapped_merge_sort_block_merge_configINS0_14default_configEiN2at4cuda3cub6detail10OpaqueTypeILi2EEEEEPiSC_PSA_SD_jNS1_19radix_merge_compareILb1ELb1EiNS0_19identity_decomposerEEEEEvT0_T1_T2_T3_T4_SL_jT5_PKSL_NS1_7vsmem_tE
		.amdhsa_group_segment_fixed_size 4224
		.amdhsa_private_segment_fixed_size 0
		.amdhsa_kernarg_size 320
		.amdhsa_user_sgpr_count 6
		.amdhsa_user_sgpr_private_segment_buffer 1
		.amdhsa_user_sgpr_dispatch_ptr 0
		.amdhsa_user_sgpr_queue_ptr 0
		.amdhsa_user_sgpr_kernarg_segment_ptr 1
		.amdhsa_user_sgpr_dispatch_id 0
		.amdhsa_user_sgpr_flat_scratch_init 0
		.amdhsa_user_sgpr_private_segment_size 0
		.amdhsa_uses_dynamic_stack 0
		.amdhsa_system_sgpr_private_segment_wavefront_offset 0
		.amdhsa_system_sgpr_workgroup_id_x 1
		.amdhsa_system_sgpr_workgroup_id_y 1
		.amdhsa_system_sgpr_workgroup_id_z 1
		.amdhsa_system_sgpr_workgroup_info 0
		.amdhsa_system_vgpr_workitem_id 0
		.amdhsa_next_free_vgpr 33
		.amdhsa_next_free_sgpr 61
		.amdhsa_reserve_vcc 1
		.amdhsa_reserve_flat_scratch 0
		.amdhsa_float_round_mode_32 0
		.amdhsa_float_round_mode_16_64 0
		.amdhsa_float_denorm_mode_32 3
		.amdhsa_float_denorm_mode_16_64 3
		.amdhsa_dx10_clamp 1
		.amdhsa_ieee_mode 1
		.amdhsa_fp16_overflow 0
		.amdhsa_exception_fp_ieee_invalid_op 0
		.amdhsa_exception_fp_denorm_src 0
		.amdhsa_exception_fp_ieee_div_zero 0
		.amdhsa_exception_fp_ieee_overflow 0
		.amdhsa_exception_fp_ieee_underflow 0
		.amdhsa_exception_fp_ieee_inexact 0
		.amdhsa_exception_int_div_zero 0
	.end_amdhsa_kernel
	.section	.text._ZN7rocprim17ROCPRIM_304000_NS6detail35device_block_merge_mergepath_kernelINS1_37wrapped_merge_sort_block_merge_configINS0_14default_configEiN2at4cuda3cub6detail10OpaqueTypeILi2EEEEEPiSC_PSA_SD_jNS1_19radix_merge_compareILb1ELb1EiNS0_19identity_decomposerEEEEEvT0_T1_T2_T3_T4_SL_jT5_PKSL_NS1_7vsmem_tE,"axG",@progbits,_ZN7rocprim17ROCPRIM_304000_NS6detail35device_block_merge_mergepath_kernelINS1_37wrapped_merge_sort_block_merge_configINS0_14default_configEiN2at4cuda3cub6detail10OpaqueTypeILi2EEEEEPiSC_PSA_SD_jNS1_19radix_merge_compareILb1ELb1EiNS0_19identity_decomposerEEEEEvT0_T1_T2_T3_T4_SL_jT5_PKSL_NS1_7vsmem_tE,comdat
.Lfunc_end8:
	.size	_ZN7rocprim17ROCPRIM_304000_NS6detail35device_block_merge_mergepath_kernelINS1_37wrapped_merge_sort_block_merge_configINS0_14default_configEiN2at4cuda3cub6detail10OpaqueTypeILi2EEEEEPiSC_PSA_SD_jNS1_19radix_merge_compareILb1ELb1EiNS0_19identity_decomposerEEEEEvT0_T1_T2_T3_T4_SL_jT5_PKSL_NS1_7vsmem_tE, .Lfunc_end8-_ZN7rocprim17ROCPRIM_304000_NS6detail35device_block_merge_mergepath_kernelINS1_37wrapped_merge_sort_block_merge_configINS0_14default_configEiN2at4cuda3cub6detail10OpaqueTypeILi2EEEEEPiSC_PSA_SD_jNS1_19radix_merge_compareILb1ELb1EiNS0_19identity_decomposerEEEEEvT0_T1_T2_T3_T4_SL_jT5_PKSL_NS1_7vsmem_tE
                                        ; -- End function
	.set _ZN7rocprim17ROCPRIM_304000_NS6detail35device_block_merge_mergepath_kernelINS1_37wrapped_merge_sort_block_merge_configINS0_14default_configEiN2at4cuda3cub6detail10OpaqueTypeILi2EEEEEPiSC_PSA_SD_jNS1_19radix_merge_compareILb1ELb1EiNS0_19identity_decomposerEEEEEvT0_T1_T2_T3_T4_SL_jT5_PKSL_NS1_7vsmem_tE.num_vgpr, 33
	.set _ZN7rocprim17ROCPRIM_304000_NS6detail35device_block_merge_mergepath_kernelINS1_37wrapped_merge_sort_block_merge_configINS0_14default_configEiN2at4cuda3cub6detail10OpaqueTypeILi2EEEEEPiSC_PSA_SD_jNS1_19radix_merge_compareILb1ELb1EiNS0_19identity_decomposerEEEEEvT0_T1_T2_T3_T4_SL_jT5_PKSL_NS1_7vsmem_tE.num_agpr, 0
	.set _ZN7rocprim17ROCPRIM_304000_NS6detail35device_block_merge_mergepath_kernelINS1_37wrapped_merge_sort_block_merge_configINS0_14default_configEiN2at4cuda3cub6detail10OpaqueTypeILi2EEEEEPiSC_PSA_SD_jNS1_19radix_merge_compareILb1ELb1EiNS0_19identity_decomposerEEEEEvT0_T1_T2_T3_T4_SL_jT5_PKSL_NS1_7vsmem_tE.numbered_sgpr, 35
	.set _ZN7rocprim17ROCPRIM_304000_NS6detail35device_block_merge_mergepath_kernelINS1_37wrapped_merge_sort_block_merge_configINS0_14default_configEiN2at4cuda3cub6detail10OpaqueTypeILi2EEEEEPiSC_PSA_SD_jNS1_19radix_merge_compareILb1ELb1EiNS0_19identity_decomposerEEEEEvT0_T1_T2_T3_T4_SL_jT5_PKSL_NS1_7vsmem_tE.num_named_barrier, 0
	.set _ZN7rocprim17ROCPRIM_304000_NS6detail35device_block_merge_mergepath_kernelINS1_37wrapped_merge_sort_block_merge_configINS0_14default_configEiN2at4cuda3cub6detail10OpaqueTypeILi2EEEEEPiSC_PSA_SD_jNS1_19radix_merge_compareILb1ELb1EiNS0_19identity_decomposerEEEEEvT0_T1_T2_T3_T4_SL_jT5_PKSL_NS1_7vsmem_tE.private_seg_size, 0
	.set _ZN7rocprim17ROCPRIM_304000_NS6detail35device_block_merge_mergepath_kernelINS1_37wrapped_merge_sort_block_merge_configINS0_14default_configEiN2at4cuda3cub6detail10OpaqueTypeILi2EEEEEPiSC_PSA_SD_jNS1_19radix_merge_compareILb1ELb1EiNS0_19identity_decomposerEEEEEvT0_T1_T2_T3_T4_SL_jT5_PKSL_NS1_7vsmem_tE.uses_vcc, 1
	.set _ZN7rocprim17ROCPRIM_304000_NS6detail35device_block_merge_mergepath_kernelINS1_37wrapped_merge_sort_block_merge_configINS0_14default_configEiN2at4cuda3cub6detail10OpaqueTypeILi2EEEEEPiSC_PSA_SD_jNS1_19radix_merge_compareILb1ELb1EiNS0_19identity_decomposerEEEEEvT0_T1_T2_T3_T4_SL_jT5_PKSL_NS1_7vsmem_tE.uses_flat_scratch, 0
	.set _ZN7rocprim17ROCPRIM_304000_NS6detail35device_block_merge_mergepath_kernelINS1_37wrapped_merge_sort_block_merge_configINS0_14default_configEiN2at4cuda3cub6detail10OpaqueTypeILi2EEEEEPiSC_PSA_SD_jNS1_19radix_merge_compareILb1ELb1EiNS0_19identity_decomposerEEEEEvT0_T1_T2_T3_T4_SL_jT5_PKSL_NS1_7vsmem_tE.has_dyn_sized_stack, 0
	.set _ZN7rocprim17ROCPRIM_304000_NS6detail35device_block_merge_mergepath_kernelINS1_37wrapped_merge_sort_block_merge_configINS0_14default_configEiN2at4cuda3cub6detail10OpaqueTypeILi2EEEEEPiSC_PSA_SD_jNS1_19radix_merge_compareILb1ELb1EiNS0_19identity_decomposerEEEEEvT0_T1_T2_T3_T4_SL_jT5_PKSL_NS1_7vsmem_tE.has_recursion, 0
	.set _ZN7rocprim17ROCPRIM_304000_NS6detail35device_block_merge_mergepath_kernelINS1_37wrapped_merge_sort_block_merge_configINS0_14default_configEiN2at4cuda3cub6detail10OpaqueTypeILi2EEEEEPiSC_PSA_SD_jNS1_19radix_merge_compareILb1ELb1EiNS0_19identity_decomposerEEEEEvT0_T1_T2_T3_T4_SL_jT5_PKSL_NS1_7vsmem_tE.has_indirect_call, 0
	.section	.AMDGPU.csdata,"",@progbits
; Kernel info:
; codeLenInByte = 6068
; TotalNumSgprs: 39
; NumVgprs: 33
; ScratchSize: 0
; MemoryBound: 0
; FloatMode: 240
; IeeeMode: 1
; LDSByteSize: 4224 bytes/workgroup (compile time only)
; SGPRBlocks: 8
; VGPRBlocks: 8
; NumSGPRsForWavesPerEU: 65
; NumVGPRsForWavesPerEU: 33
; Occupancy: 7
; WaveLimiterHint : 1
; COMPUTE_PGM_RSRC2:SCRATCH_EN: 0
; COMPUTE_PGM_RSRC2:USER_SGPR: 6
; COMPUTE_PGM_RSRC2:TRAP_HANDLER: 0
; COMPUTE_PGM_RSRC2:TGID_X_EN: 1
; COMPUTE_PGM_RSRC2:TGID_Y_EN: 1
; COMPUTE_PGM_RSRC2:TGID_Z_EN: 1
; COMPUTE_PGM_RSRC2:TIDIG_COMP_CNT: 0
	.section	.text._ZN7rocprim17ROCPRIM_304000_NS6detail33device_block_merge_oddeven_kernelINS1_37wrapped_merge_sort_block_merge_configINS0_14default_configEiN2at4cuda3cub6detail10OpaqueTypeILi2EEEEEPiSC_PSA_SD_jNS1_19radix_merge_compareILb1ELb1EiNS0_19identity_decomposerEEEEEvT0_T1_T2_T3_T4_SL_T5_,"axG",@progbits,_ZN7rocprim17ROCPRIM_304000_NS6detail33device_block_merge_oddeven_kernelINS1_37wrapped_merge_sort_block_merge_configINS0_14default_configEiN2at4cuda3cub6detail10OpaqueTypeILi2EEEEEPiSC_PSA_SD_jNS1_19radix_merge_compareILb1ELb1EiNS0_19identity_decomposerEEEEEvT0_T1_T2_T3_T4_SL_T5_,comdat
	.protected	_ZN7rocprim17ROCPRIM_304000_NS6detail33device_block_merge_oddeven_kernelINS1_37wrapped_merge_sort_block_merge_configINS0_14default_configEiN2at4cuda3cub6detail10OpaqueTypeILi2EEEEEPiSC_PSA_SD_jNS1_19radix_merge_compareILb1ELb1EiNS0_19identity_decomposerEEEEEvT0_T1_T2_T3_T4_SL_T5_ ; -- Begin function _ZN7rocprim17ROCPRIM_304000_NS6detail33device_block_merge_oddeven_kernelINS1_37wrapped_merge_sort_block_merge_configINS0_14default_configEiN2at4cuda3cub6detail10OpaqueTypeILi2EEEEEPiSC_PSA_SD_jNS1_19radix_merge_compareILb1ELb1EiNS0_19identity_decomposerEEEEEvT0_T1_T2_T3_T4_SL_T5_
	.globl	_ZN7rocprim17ROCPRIM_304000_NS6detail33device_block_merge_oddeven_kernelINS1_37wrapped_merge_sort_block_merge_configINS0_14default_configEiN2at4cuda3cub6detail10OpaqueTypeILi2EEEEEPiSC_PSA_SD_jNS1_19radix_merge_compareILb1ELb1EiNS0_19identity_decomposerEEEEEvT0_T1_T2_T3_T4_SL_T5_
	.p2align	8
	.type	_ZN7rocprim17ROCPRIM_304000_NS6detail33device_block_merge_oddeven_kernelINS1_37wrapped_merge_sort_block_merge_configINS0_14default_configEiN2at4cuda3cub6detail10OpaqueTypeILi2EEEEEPiSC_PSA_SD_jNS1_19radix_merge_compareILb1ELb1EiNS0_19identity_decomposerEEEEEvT0_T1_T2_T3_T4_SL_T5_,@function
_ZN7rocprim17ROCPRIM_304000_NS6detail33device_block_merge_oddeven_kernelINS1_37wrapped_merge_sort_block_merge_configINS0_14default_configEiN2at4cuda3cub6detail10OpaqueTypeILi2EEEEEPiSC_PSA_SD_jNS1_19radix_merge_compareILb1ELb1EiNS0_19identity_decomposerEEEEEvT0_T1_T2_T3_T4_SL_T5_: ; @_ZN7rocprim17ROCPRIM_304000_NS6detail33device_block_merge_oddeven_kernelINS1_37wrapped_merge_sort_block_merge_configINS0_14default_configEiN2at4cuda3cub6detail10OpaqueTypeILi2EEEEEPiSC_PSA_SD_jNS1_19radix_merge_compareILb1ELb1EiNS0_19identity_decomposerEEEEEvT0_T1_T2_T3_T4_SL_T5_
; %bb.0:
	s_load_dwordx4 s[16:19], s[4:5], 0x20
	s_waitcnt lgkmcnt(0)
	s_lshr_b32 s0, s16, 8
	s_cmp_eq_u32 s6, s0
	s_cselect_b64 s[20:21], -1, 0
	s_cmp_lg_u32 s6, s0
	s_cselect_b64 s[0:1], -1, 0
	s_lshl_b32 s22, s6, 8
	s_sub_i32 s2, s16, s22
	v_cmp_gt_u32_e64 s[2:3], s2, v0
	s_or_b64 s[0:1], s[0:1], s[2:3]
	s_and_saveexec_b64 s[8:9], s[0:1]
	s_cbranch_execz .LBB9_24
; %bb.1:
	s_load_dwordx8 s[8:15], s[4:5], 0x0
	s_mov_b32 s23, 0
	s_lshl_b64 s[0:1], s[22:23], 2
	v_lshlrev_b32_e32 v4, 1, v0
	v_lshlrev_b32_e32 v1, 2, v0
	s_waitcnt lgkmcnt(0)
	s_add_u32 s0, s8, s0
	s_addc_u32 s1, s9, s1
	s_lshl_b64 s[4:5], s[22:23], 1
	s_add_u32 s4, s12, s4
	s_addc_u32 s5, s13, s5
	global_load_ushort v2, v4, s[4:5]
	global_load_dword v3, v1, s[0:1]
	s_lshr_b32 s0, s17, 8
	s_sub_i32 s1, 0, s0
	s_and_b32 s1, s6, s1
	s_and_b32 s0, s1, s0
	s_lshl_b32 s13, s1, 8
	s_sub_i32 s6, 0, s17
	s_cmp_eq_u32 s0, 0
	s_cselect_b64 s[0:1], -1, 0
	s_and_b64 s[4:5], s[0:1], exec
	s_cselect_b32 s6, s17, s6
	s_add_i32 s6, s6, s13
	s_mov_b64 s[4:5], -1
	s_cmp_gt_u32 s16, s6
	v_add_u32_e32 v0, s22, v0
	s_cbranch_scc1 .LBB9_9
; %bb.2:
	s_and_b64 vcc, exec, s[20:21]
	s_cbranch_vccz .LBB9_6
; %bb.3:
	v_cmp_gt_u32_e32 vcc, s16, v0
	s_and_saveexec_b64 s[4:5], vcc
	s_cbranch_execz .LBB9_5
; %bb.4:
	v_mov_b32_e32 v1, 0
	v_lshlrev_b64 v[4:5], 1, v[0:1]
	v_mov_b32_e32 v6, s15
	v_add_co_u32_e32 v4, vcc, s14, v4
	v_addc_co_u32_e32 v5, vcc, v6, v5, vcc
	v_lshlrev_b64 v[6:7], 2, v[0:1]
	v_mov_b32_e32 v1, s11
	v_add_co_u32_e32 v6, vcc, s10, v6
	v_addc_co_u32_e32 v7, vcc, v1, v7, vcc
	s_waitcnt vmcnt(0)
	global_store_dword v[6:7], v3, off
	global_store_short v[4:5], v2, off
.LBB9_5:
	s_or_b64 exec, exec, s[4:5]
	s_mov_b64 s[4:5], 0
.LBB9_6:
	s_andn2_b64 vcc, exec, s[4:5]
	s_cbranch_vccnz .LBB9_8
; %bb.7:
	v_mov_b32_e32 v1, 0
	v_lshlrev_b64 v[4:5], 2, v[0:1]
	v_mov_b32_e32 v6, s11
	v_add_co_u32_e32 v4, vcc, s10, v4
	v_addc_co_u32_e32 v5, vcc, v6, v5, vcc
	v_lshlrev_b64 v[6:7], 1, v[0:1]
	v_mov_b32_e32 v1, s15
	v_add_co_u32_e32 v6, vcc, s14, v6
	v_addc_co_u32_e32 v7, vcc, v1, v7, vcc
	s_waitcnt vmcnt(0)
	global_store_dword v[4:5], v3, off
	global_store_short v[6:7], v2, off
.LBB9_8:
	s_mov_b64 s[4:5], 0
.LBB9_9:
	s_andn2_b64 vcc, exec, s[4:5]
	s_cbranch_vccnz .LBB9_24
; %bb.10:
	s_min_u32 s7, s6, s16
	s_add_i32 s4, s7, s17
	s_min_u32 s12, s4, s16
	s_min_u32 s4, s13, s7
	s_add_i32 s13, s13, s7
	v_subrev_u32_e32 v0, s13, v0
	v_add_u32_e32 v4, s4, v0
	s_waitcnt vmcnt(0)
	v_and_b32_e32 v5, s18, v3
	s_mov_b64 s[4:5], -1
	s_and_b64 vcc, exec, s[20:21]
	s_cbranch_vccz .LBB9_18
; %bb.11:
	s_and_saveexec_b64 s[4:5], s[2:3]
	s_cbranch_execz .LBB9_17
; %bb.12:
	s_cmp_ge_u32 s6, s12
	v_mov_b32_e32 v6, s7
	s_cbranch_scc1 .LBB9_16
; %bb.13:
	s_mov_b64 s[2:3], 0
	v_mov_b32_e32 v7, s12
	v_mov_b32_e32 v6, s7
	;; [unrolled: 1-line block ×4, first 2 shown]
.LBB9_14:                               ; =>This Inner Loop Header: Depth=1
	v_add_u32_e32 v0, v6, v7
	v_lshrrev_b32_e32 v0, 1, v0
	v_lshlrev_b64 v[9:10], 2, v[0:1]
	v_add_co_u32_e32 v9, vcc, s8, v9
	v_addc_co_u32_e32 v10, vcc, v8, v10, vcc
	global_load_dword v9, v[9:10], off
	v_add_u32_e32 v10, 1, v0
	s_waitcnt vmcnt(0)
	v_and_b32_e32 v9, s18, v9
	v_cmp_gt_i32_e32 vcc, v9, v5
	v_cndmask_b32_e64 v11, 0, 1, vcc
	v_cmp_le_i32_e32 vcc, v5, v9
	v_cndmask_b32_e64 v9, 0, 1, vcc
	v_cndmask_b32_e64 v9, v9, v11, s[0:1]
	v_and_b32_e32 v9, 1, v9
	v_cmp_eq_u32_e32 vcc, 1, v9
	v_cndmask_b32_e32 v7, v0, v7, vcc
	v_cndmask_b32_e32 v6, v6, v10, vcc
	v_cmp_ge_u32_e32 vcc, v6, v7
	s_or_b64 s[2:3], vcc, s[2:3]
	s_andn2_b64 exec, exec, s[2:3]
	s_cbranch_execnz .LBB9_14
; %bb.15:
	s_or_b64 exec, exec, s[2:3]
.LBB9_16:
	v_add_u32_e32 v0, v6, v4
	v_mov_b32_e32 v1, 0
	v_lshlrev_b64 v[6:7], 2, v[0:1]
	v_mov_b32_e32 v8, s11
	v_add_co_u32_e32 v6, vcc, s10, v6
	v_lshlrev_b64 v[0:1], 1, v[0:1]
	v_addc_co_u32_e32 v7, vcc, v8, v7, vcc
	global_store_dword v[6:7], v3, off
	v_mov_b32_e32 v6, s15
	v_add_co_u32_e32 v0, vcc, s14, v0
	v_addc_co_u32_e32 v1, vcc, v6, v1, vcc
	global_store_short v[0:1], v2, off
.LBB9_17:
	s_or_b64 exec, exec, s[4:5]
	s_mov_b64 s[4:5], 0
.LBB9_18:
	s_andn2_b64 vcc, exec, s[4:5]
	s_cbranch_vccnz .LBB9_24
; %bb.19:
	s_cmp_ge_u32 s6, s12
	v_mov_b32_e32 v6, s7
	s_cbranch_scc1 .LBB9_23
; %bb.20:
	s_mov_b64 s[2:3], 0
	v_mov_b32_e32 v7, s12
	v_mov_b32_e32 v6, s7
	;; [unrolled: 1-line block ×4, first 2 shown]
.LBB9_21:                               ; =>This Inner Loop Header: Depth=1
	v_add_u32_e32 v0, v6, v7
	v_lshrrev_b32_e32 v0, 1, v0
	v_lshlrev_b64 v[9:10], 2, v[0:1]
	v_add_co_u32_e32 v9, vcc, s8, v9
	v_addc_co_u32_e32 v10, vcc, v8, v10, vcc
	global_load_dword v9, v[9:10], off
	v_add_u32_e32 v10, 1, v0
	s_waitcnt vmcnt(0)
	v_and_b32_e32 v9, s18, v9
	v_cmp_gt_i32_e32 vcc, v9, v5
	v_cndmask_b32_e64 v11, 0, 1, vcc
	v_cmp_le_i32_e32 vcc, v5, v9
	v_cndmask_b32_e64 v9, 0, 1, vcc
	v_cndmask_b32_e64 v9, v9, v11, s[0:1]
	v_and_b32_e32 v9, 1, v9
	v_cmp_eq_u32_e32 vcc, 1, v9
	v_cndmask_b32_e32 v7, v0, v7, vcc
	v_cndmask_b32_e32 v6, v6, v10, vcc
	v_cmp_ge_u32_e32 vcc, v6, v7
	s_or_b64 s[2:3], vcc, s[2:3]
	s_andn2_b64 exec, exec, s[2:3]
	s_cbranch_execnz .LBB9_21
; %bb.22:
	s_or_b64 exec, exec, s[2:3]
.LBB9_23:
	v_add_u32_e32 v0, v6, v4
	v_mov_b32_e32 v1, 0
	v_lshlrev_b64 v[4:5], 2, v[0:1]
	v_mov_b32_e32 v6, s11
	v_add_co_u32_e32 v4, vcc, s10, v4
	v_lshlrev_b64 v[0:1], 1, v[0:1]
	v_addc_co_u32_e32 v5, vcc, v6, v5, vcc
	global_store_dword v[4:5], v3, off
	v_mov_b32_e32 v3, s15
	v_add_co_u32_e32 v0, vcc, s14, v0
	v_addc_co_u32_e32 v1, vcc, v3, v1, vcc
	global_store_short v[0:1], v2, off
.LBB9_24:
	s_endpgm
	.section	.rodata,"a",@progbits
	.p2align	6, 0x0
	.amdhsa_kernel _ZN7rocprim17ROCPRIM_304000_NS6detail33device_block_merge_oddeven_kernelINS1_37wrapped_merge_sort_block_merge_configINS0_14default_configEiN2at4cuda3cub6detail10OpaqueTypeILi2EEEEEPiSC_PSA_SD_jNS1_19radix_merge_compareILb1ELb1EiNS0_19identity_decomposerEEEEEvT0_T1_T2_T3_T4_SL_T5_
		.amdhsa_group_segment_fixed_size 0
		.amdhsa_private_segment_fixed_size 0
		.amdhsa_kernarg_size 44
		.amdhsa_user_sgpr_count 6
		.amdhsa_user_sgpr_private_segment_buffer 1
		.amdhsa_user_sgpr_dispatch_ptr 0
		.amdhsa_user_sgpr_queue_ptr 0
		.amdhsa_user_sgpr_kernarg_segment_ptr 1
		.amdhsa_user_sgpr_dispatch_id 0
		.amdhsa_user_sgpr_flat_scratch_init 0
		.amdhsa_user_sgpr_private_segment_size 0
		.amdhsa_uses_dynamic_stack 0
		.amdhsa_system_sgpr_private_segment_wavefront_offset 0
		.amdhsa_system_sgpr_workgroup_id_x 1
		.amdhsa_system_sgpr_workgroup_id_y 0
		.amdhsa_system_sgpr_workgroup_id_z 0
		.amdhsa_system_sgpr_workgroup_info 0
		.amdhsa_system_vgpr_workitem_id 0
		.amdhsa_next_free_vgpr 12
		.amdhsa_next_free_sgpr 24
		.amdhsa_reserve_vcc 1
		.amdhsa_reserve_flat_scratch 0
		.amdhsa_float_round_mode_32 0
		.amdhsa_float_round_mode_16_64 0
		.amdhsa_float_denorm_mode_32 3
		.amdhsa_float_denorm_mode_16_64 3
		.amdhsa_dx10_clamp 1
		.amdhsa_ieee_mode 1
		.amdhsa_fp16_overflow 0
		.amdhsa_exception_fp_ieee_invalid_op 0
		.amdhsa_exception_fp_denorm_src 0
		.amdhsa_exception_fp_ieee_div_zero 0
		.amdhsa_exception_fp_ieee_overflow 0
		.amdhsa_exception_fp_ieee_underflow 0
		.amdhsa_exception_fp_ieee_inexact 0
		.amdhsa_exception_int_div_zero 0
	.end_amdhsa_kernel
	.section	.text._ZN7rocprim17ROCPRIM_304000_NS6detail33device_block_merge_oddeven_kernelINS1_37wrapped_merge_sort_block_merge_configINS0_14default_configEiN2at4cuda3cub6detail10OpaqueTypeILi2EEEEEPiSC_PSA_SD_jNS1_19radix_merge_compareILb1ELb1EiNS0_19identity_decomposerEEEEEvT0_T1_T2_T3_T4_SL_T5_,"axG",@progbits,_ZN7rocprim17ROCPRIM_304000_NS6detail33device_block_merge_oddeven_kernelINS1_37wrapped_merge_sort_block_merge_configINS0_14default_configEiN2at4cuda3cub6detail10OpaqueTypeILi2EEEEEPiSC_PSA_SD_jNS1_19radix_merge_compareILb1ELb1EiNS0_19identity_decomposerEEEEEvT0_T1_T2_T3_T4_SL_T5_,comdat
.Lfunc_end9:
	.size	_ZN7rocprim17ROCPRIM_304000_NS6detail33device_block_merge_oddeven_kernelINS1_37wrapped_merge_sort_block_merge_configINS0_14default_configEiN2at4cuda3cub6detail10OpaqueTypeILi2EEEEEPiSC_PSA_SD_jNS1_19radix_merge_compareILb1ELb1EiNS0_19identity_decomposerEEEEEvT0_T1_T2_T3_T4_SL_T5_, .Lfunc_end9-_ZN7rocprim17ROCPRIM_304000_NS6detail33device_block_merge_oddeven_kernelINS1_37wrapped_merge_sort_block_merge_configINS0_14default_configEiN2at4cuda3cub6detail10OpaqueTypeILi2EEEEEPiSC_PSA_SD_jNS1_19radix_merge_compareILb1ELb1EiNS0_19identity_decomposerEEEEEvT0_T1_T2_T3_T4_SL_T5_
                                        ; -- End function
	.set _ZN7rocprim17ROCPRIM_304000_NS6detail33device_block_merge_oddeven_kernelINS1_37wrapped_merge_sort_block_merge_configINS0_14default_configEiN2at4cuda3cub6detail10OpaqueTypeILi2EEEEEPiSC_PSA_SD_jNS1_19radix_merge_compareILb1ELb1EiNS0_19identity_decomposerEEEEEvT0_T1_T2_T3_T4_SL_T5_.num_vgpr, 12
	.set _ZN7rocprim17ROCPRIM_304000_NS6detail33device_block_merge_oddeven_kernelINS1_37wrapped_merge_sort_block_merge_configINS0_14default_configEiN2at4cuda3cub6detail10OpaqueTypeILi2EEEEEPiSC_PSA_SD_jNS1_19radix_merge_compareILb1ELb1EiNS0_19identity_decomposerEEEEEvT0_T1_T2_T3_T4_SL_T5_.num_agpr, 0
	.set _ZN7rocprim17ROCPRIM_304000_NS6detail33device_block_merge_oddeven_kernelINS1_37wrapped_merge_sort_block_merge_configINS0_14default_configEiN2at4cuda3cub6detail10OpaqueTypeILi2EEEEEPiSC_PSA_SD_jNS1_19radix_merge_compareILb1ELb1EiNS0_19identity_decomposerEEEEEvT0_T1_T2_T3_T4_SL_T5_.numbered_sgpr, 24
	.set _ZN7rocprim17ROCPRIM_304000_NS6detail33device_block_merge_oddeven_kernelINS1_37wrapped_merge_sort_block_merge_configINS0_14default_configEiN2at4cuda3cub6detail10OpaqueTypeILi2EEEEEPiSC_PSA_SD_jNS1_19radix_merge_compareILb1ELb1EiNS0_19identity_decomposerEEEEEvT0_T1_T2_T3_T4_SL_T5_.num_named_barrier, 0
	.set _ZN7rocprim17ROCPRIM_304000_NS6detail33device_block_merge_oddeven_kernelINS1_37wrapped_merge_sort_block_merge_configINS0_14default_configEiN2at4cuda3cub6detail10OpaqueTypeILi2EEEEEPiSC_PSA_SD_jNS1_19radix_merge_compareILb1ELb1EiNS0_19identity_decomposerEEEEEvT0_T1_T2_T3_T4_SL_T5_.private_seg_size, 0
	.set _ZN7rocprim17ROCPRIM_304000_NS6detail33device_block_merge_oddeven_kernelINS1_37wrapped_merge_sort_block_merge_configINS0_14default_configEiN2at4cuda3cub6detail10OpaqueTypeILi2EEEEEPiSC_PSA_SD_jNS1_19radix_merge_compareILb1ELb1EiNS0_19identity_decomposerEEEEEvT0_T1_T2_T3_T4_SL_T5_.uses_vcc, 1
	.set _ZN7rocprim17ROCPRIM_304000_NS6detail33device_block_merge_oddeven_kernelINS1_37wrapped_merge_sort_block_merge_configINS0_14default_configEiN2at4cuda3cub6detail10OpaqueTypeILi2EEEEEPiSC_PSA_SD_jNS1_19radix_merge_compareILb1ELb1EiNS0_19identity_decomposerEEEEEvT0_T1_T2_T3_T4_SL_T5_.uses_flat_scratch, 0
	.set _ZN7rocprim17ROCPRIM_304000_NS6detail33device_block_merge_oddeven_kernelINS1_37wrapped_merge_sort_block_merge_configINS0_14default_configEiN2at4cuda3cub6detail10OpaqueTypeILi2EEEEEPiSC_PSA_SD_jNS1_19radix_merge_compareILb1ELb1EiNS0_19identity_decomposerEEEEEvT0_T1_T2_T3_T4_SL_T5_.has_dyn_sized_stack, 0
	.set _ZN7rocprim17ROCPRIM_304000_NS6detail33device_block_merge_oddeven_kernelINS1_37wrapped_merge_sort_block_merge_configINS0_14default_configEiN2at4cuda3cub6detail10OpaqueTypeILi2EEEEEPiSC_PSA_SD_jNS1_19radix_merge_compareILb1ELb1EiNS0_19identity_decomposerEEEEEvT0_T1_T2_T3_T4_SL_T5_.has_recursion, 0
	.set _ZN7rocprim17ROCPRIM_304000_NS6detail33device_block_merge_oddeven_kernelINS1_37wrapped_merge_sort_block_merge_configINS0_14default_configEiN2at4cuda3cub6detail10OpaqueTypeILi2EEEEEPiSC_PSA_SD_jNS1_19radix_merge_compareILb1ELb1EiNS0_19identity_decomposerEEEEEvT0_T1_T2_T3_T4_SL_T5_.has_indirect_call, 0
	.section	.AMDGPU.csdata,"",@progbits
; Kernel info:
; codeLenInByte = 852
; TotalNumSgprs: 28
; NumVgprs: 12
; ScratchSize: 0
; MemoryBound: 0
; FloatMode: 240
; IeeeMode: 1
; LDSByteSize: 0 bytes/workgroup (compile time only)
; SGPRBlocks: 3
; VGPRBlocks: 2
; NumSGPRsForWavesPerEU: 28
; NumVGPRsForWavesPerEU: 12
; Occupancy: 10
; WaveLimiterHint : 0
; COMPUTE_PGM_RSRC2:SCRATCH_EN: 0
; COMPUTE_PGM_RSRC2:USER_SGPR: 6
; COMPUTE_PGM_RSRC2:TRAP_HANDLER: 0
; COMPUTE_PGM_RSRC2:TGID_X_EN: 1
; COMPUTE_PGM_RSRC2:TGID_Y_EN: 0
; COMPUTE_PGM_RSRC2:TGID_Z_EN: 0
; COMPUTE_PGM_RSRC2:TIDIG_COMP_CNT: 0
	.section	.text._ZN7rocprim17ROCPRIM_304000_NS6detail26onesweep_histograms_kernelINS1_34wrapped_radix_sort_onesweep_configINS0_14default_configEiN2at4cuda3cub6detail10OpaqueTypeILi2EEEEELb1EPKimNS0_19identity_decomposerEEEvT1_PT2_SG_SG_T3_jj,"axG",@progbits,_ZN7rocprim17ROCPRIM_304000_NS6detail26onesweep_histograms_kernelINS1_34wrapped_radix_sort_onesweep_configINS0_14default_configEiN2at4cuda3cub6detail10OpaqueTypeILi2EEEEELb1EPKimNS0_19identity_decomposerEEEvT1_PT2_SG_SG_T3_jj,comdat
	.protected	_ZN7rocprim17ROCPRIM_304000_NS6detail26onesweep_histograms_kernelINS1_34wrapped_radix_sort_onesweep_configINS0_14default_configEiN2at4cuda3cub6detail10OpaqueTypeILi2EEEEELb1EPKimNS0_19identity_decomposerEEEvT1_PT2_SG_SG_T3_jj ; -- Begin function _ZN7rocprim17ROCPRIM_304000_NS6detail26onesweep_histograms_kernelINS1_34wrapped_radix_sort_onesweep_configINS0_14default_configEiN2at4cuda3cub6detail10OpaqueTypeILi2EEEEELb1EPKimNS0_19identity_decomposerEEEvT1_PT2_SG_SG_T3_jj
	.globl	_ZN7rocprim17ROCPRIM_304000_NS6detail26onesweep_histograms_kernelINS1_34wrapped_radix_sort_onesweep_configINS0_14default_configEiN2at4cuda3cub6detail10OpaqueTypeILi2EEEEELb1EPKimNS0_19identity_decomposerEEEvT1_PT2_SG_SG_T3_jj
	.p2align	8
	.type	_ZN7rocprim17ROCPRIM_304000_NS6detail26onesweep_histograms_kernelINS1_34wrapped_radix_sort_onesweep_configINS0_14default_configEiN2at4cuda3cub6detail10OpaqueTypeILi2EEEEELb1EPKimNS0_19identity_decomposerEEEvT1_PT2_SG_SG_T3_jj,@function
_ZN7rocprim17ROCPRIM_304000_NS6detail26onesweep_histograms_kernelINS1_34wrapped_radix_sort_onesweep_configINS0_14default_configEiN2at4cuda3cub6detail10OpaqueTypeILi2EEEEELb1EPKimNS0_19identity_decomposerEEEvT1_PT2_SG_SG_T3_jj: ; @_ZN7rocprim17ROCPRIM_304000_NS6detail26onesweep_histograms_kernelINS1_34wrapped_radix_sort_onesweep_configINS0_14default_configEiN2at4cuda3cub6detail10OpaqueTypeILi2EEEEELb1EPKimNS0_19identity_decomposerEEEvT1_PT2_SG_SG_T3_jj
; %bb.0:
	s_load_dwordx8 s[36:43], s[4:5], 0x0
	s_load_dwordx2 s[44:45], s[4:5], 0x24
	v_mov_b32_e32 v1, s6
	v_mov_b32_e32 v2, 0
	s_mul_hi_u32 s0, s6, 0x4800
	s_waitcnt lgkmcnt(0)
	v_cmp_le_u64_e32 vcc, s[42:43], v[1:2]
	s_mulk_i32 s6, 0x4800
	s_add_u32 s46, s36, s6
	s_addc_u32 s47, s37, s0
	s_mov_b64 s[0:1], -1
	v_lshlrev_b32_e32 v3, 2, v0
	s_cbranch_vccz .LBB10_118
; %bb.1:
	s_mul_i32 s33, s42, 0xffffee00
	v_lshlrev_b32_e32 v22, 2, v0
	s_add_i32 s33, s33, s40
	v_mov_b32_e32 v2, s47
	v_add_co_u32_e32 v1, vcc, s46, v22
	v_addc_co_u32_e32 v2, vcc, 0, v2, vcc
	v_cmp_gt_u32_e64 s[36:37], s33, v0
                                        ; implicit-def: $vgpr21
	s_and_saveexec_b64 s[0:1], s[36:37]
	s_cbranch_execz .LBB10_3
; %bb.2:
	global_load_dword v4, v[1:2], off
	s_waitcnt vmcnt(0)
	v_xor_b32_e32 v21, 0x7fffffff, v4
.LBB10_3:
	s_or_b64 exec, exec, s[0:1]
	v_or_b32_e32 v4, 0x100, v0
	v_cmp_gt_u32_e64 s[34:35], s33, v4
                                        ; implicit-def: $vgpr20
	s_and_saveexec_b64 s[0:1], s[34:35]
	s_cbranch_execz .LBB10_5
; %bb.4:
	global_load_dword v4, v[1:2], off offset:1024
	s_waitcnt vmcnt(0)
	v_xor_b32_e32 v20, 0x7fffffff, v4
.LBB10_5:
	s_or_b64 exec, exec, s[0:1]
	v_or_b32_e32 v4, 0x200, v0
	v_cmp_gt_u32_e64 s[30:31], s33, v4
                                        ; implicit-def: $vgpr19
	s_and_saveexec_b64 s[0:1], s[30:31]
	s_cbranch_execz .LBB10_7
; %bb.6:
	global_load_dword v4, v[1:2], off offset:2048
	s_waitcnt vmcnt(0)
	v_xor_b32_e32 v19, 0x7fffffff, v4
.LBB10_7:
	s_or_b64 exec, exec, s[0:1]
	v_or_b32_e32 v4, 0x300, v0
	v_cmp_gt_u32_e64 s[28:29], s33, v4
                                        ; implicit-def: $vgpr18
	s_and_saveexec_b64 s[0:1], s[28:29]
	s_cbranch_execz .LBB10_9
; %bb.8:
	global_load_dword v4, v[1:2], off offset:3072
	s_waitcnt vmcnt(0)
	v_xor_b32_e32 v18, 0x7fffffff, v4
.LBB10_9:
	s_or_b64 exec, exec, s[0:1]
	v_or_b32_e32 v4, 0x400, v0
	v_cmp_gt_u32_e64 s[26:27], s33, v4
                                        ; implicit-def: $vgpr17
	s_and_saveexec_b64 s[0:1], s[26:27]
	s_cbranch_execz .LBB10_11
; %bb.10:
	v_add_co_u32_e32 v4, vcc, 0x1000, v1
	v_addc_co_u32_e32 v5, vcc, 0, v2, vcc
	global_load_dword v4, v[4:5], off
	s_waitcnt vmcnt(0)
	v_xor_b32_e32 v17, 0x7fffffff, v4
.LBB10_11:
	s_or_b64 exec, exec, s[0:1]
	v_or_b32_e32 v4, 0x500, v0
	v_cmp_gt_u32_e64 s[24:25], s33, v4
                                        ; implicit-def: $vgpr16
	s_and_saveexec_b64 s[0:1], s[24:25]
	s_cbranch_execz .LBB10_13
; %bb.12:
	v_add_co_u32_e32 v4, vcc, 0x1000, v1
	v_addc_co_u32_e32 v5, vcc, 0, v2, vcc
	global_load_dword v4, v[4:5], off offset:1024
	s_waitcnt vmcnt(0)
	v_xor_b32_e32 v16, 0x7fffffff, v4
.LBB10_13:
	s_or_b64 exec, exec, s[0:1]
	v_or_b32_e32 v4, 0x600, v0
	v_cmp_gt_u32_e64 s[22:23], s33, v4
                                        ; implicit-def: $vgpr15
	s_and_saveexec_b64 s[0:1], s[22:23]
	s_cbranch_execz .LBB10_15
; %bb.14:
	v_add_co_u32_e32 v4, vcc, 0x1000, v1
	v_addc_co_u32_e32 v5, vcc, 0, v2, vcc
	global_load_dword v4, v[4:5], off offset:2048
	s_waitcnt vmcnt(0)
	v_xor_b32_e32 v15, 0x7fffffff, v4
.LBB10_15:
	s_or_b64 exec, exec, s[0:1]
	v_or_b32_e32 v4, 0x700, v0
	v_cmp_gt_u32_e64 s[20:21], s33, v4
                                        ; implicit-def: $vgpr14
	s_and_saveexec_b64 s[0:1], s[20:21]
	s_cbranch_execz .LBB10_17
; %bb.16:
	v_add_co_u32_e32 v4, vcc, 0x1000, v1
	v_addc_co_u32_e32 v5, vcc, 0, v2, vcc
	global_load_dword v4, v[4:5], off offset:3072
	s_waitcnt vmcnt(0)
	v_xor_b32_e32 v14, 0x7fffffff, v4
.LBB10_17:
	s_or_b64 exec, exec, s[0:1]
	v_or_b32_e32 v4, 0x800, v0
	v_cmp_gt_u32_e64 s[18:19], s33, v4
                                        ; implicit-def: $vgpr13
	s_and_saveexec_b64 s[0:1], s[18:19]
	s_cbranch_execz .LBB10_19
; %bb.18:
	v_add_co_u32_e32 v4, vcc, 0x2000, v1
	v_addc_co_u32_e32 v5, vcc, 0, v2, vcc
	global_load_dword v4, v[4:5], off
	s_waitcnt vmcnt(0)
	v_xor_b32_e32 v13, 0x7fffffff, v4
.LBB10_19:
	s_or_b64 exec, exec, s[0:1]
	v_or_b32_e32 v4, 0x900, v0
	v_cmp_gt_u32_e64 s[16:17], s33, v4
                                        ; implicit-def: $vgpr12
	s_and_saveexec_b64 s[0:1], s[16:17]
	s_cbranch_execz .LBB10_21
; %bb.20:
	v_add_co_u32_e32 v4, vcc, 0x2000, v1
	v_addc_co_u32_e32 v5, vcc, 0, v2, vcc
	global_load_dword v4, v[4:5], off offset:1024
	s_waitcnt vmcnt(0)
	v_xor_b32_e32 v12, 0x7fffffff, v4
.LBB10_21:
	s_or_b64 exec, exec, s[0:1]
	v_or_b32_e32 v4, 0xa00, v0
	v_cmp_gt_u32_e64 s[14:15], s33, v4
                                        ; implicit-def: $vgpr11
	s_and_saveexec_b64 s[0:1], s[14:15]
	s_cbranch_execz .LBB10_23
; %bb.22:
	v_add_co_u32_e32 v4, vcc, 0x2000, v1
	v_addc_co_u32_e32 v5, vcc, 0, v2, vcc
	global_load_dword v4, v[4:5], off offset:2048
	s_waitcnt vmcnt(0)
	v_xor_b32_e32 v11, 0x7fffffff, v4
.LBB10_23:
	s_or_b64 exec, exec, s[0:1]
	v_or_b32_e32 v4, 0xb00, v0
	v_cmp_gt_u32_e64 s[12:13], s33, v4
                                        ; implicit-def: $vgpr10
	s_and_saveexec_b64 s[0:1], s[12:13]
	s_cbranch_execz .LBB10_25
; %bb.24:
	v_add_co_u32_e32 v4, vcc, 0x2000, v1
	v_addc_co_u32_e32 v5, vcc, 0, v2, vcc
	global_load_dword v4, v[4:5], off offset:3072
	s_waitcnt vmcnt(0)
	v_xor_b32_e32 v10, 0x7fffffff, v4
.LBB10_25:
	s_or_b64 exec, exec, s[0:1]
	v_or_b32_e32 v4, 0xc00, v0
	v_cmp_gt_u32_e64 s[10:11], s33, v4
                                        ; implicit-def: $vgpr9
	s_and_saveexec_b64 s[0:1], s[10:11]
	s_cbranch_execz .LBB10_27
; %bb.26:
	v_add_co_u32_e32 v4, vcc, 0x3000, v1
	v_addc_co_u32_e32 v5, vcc, 0, v2, vcc
	global_load_dword v4, v[4:5], off
	s_waitcnt vmcnt(0)
	v_xor_b32_e32 v9, 0x7fffffff, v4
.LBB10_27:
	s_or_b64 exec, exec, s[0:1]
	v_or_b32_e32 v4, 0xd00, v0
	v_cmp_gt_u32_e64 s[8:9], s33, v4
                                        ; implicit-def: $vgpr8
	s_and_saveexec_b64 s[0:1], s[8:9]
	s_cbranch_execz .LBB10_29
; %bb.28:
	v_add_co_u32_e32 v4, vcc, 0x3000, v1
	v_addc_co_u32_e32 v5, vcc, 0, v2, vcc
	global_load_dword v4, v[4:5], off offset:1024
	s_waitcnt vmcnt(0)
	v_xor_b32_e32 v8, 0x7fffffff, v4
.LBB10_29:
	s_or_b64 exec, exec, s[0:1]
	v_or_b32_e32 v4, 0xe00, v0
	v_cmp_gt_u32_e64 s[6:7], s33, v4
                                        ; implicit-def: $vgpr7
	s_and_saveexec_b64 s[0:1], s[6:7]
	s_cbranch_execz .LBB10_31
; %bb.30:
	v_add_co_u32_e32 v4, vcc, 0x3000, v1
	v_addc_co_u32_e32 v5, vcc, 0, v2, vcc
	global_load_dword v4, v[4:5], off offset:2048
	s_waitcnt vmcnt(0)
	v_xor_b32_e32 v7, 0x7fffffff, v4
.LBB10_31:
	s_or_b64 exec, exec, s[0:1]
	v_or_b32_e32 v4, 0xf00, v0
	v_cmp_gt_u32_e64 s[4:5], s33, v4
                                        ; implicit-def: $vgpr6
	s_and_saveexec_b64 s[0:1], s[4:5]
	s_cbranch_execz .LBB10_33
; %bb.32:
	v_add_co_u32_e32 v4, vcc, 0x3000, v1
	v_addc_co_u32_e32 v5, vcc, 0, v2, vcc
	global_load_dword v4, v[4:5], off offset:3072
	s_waitcnt vmcnt(0)
	v_xor_b32_e32 v6, 0x7fffffff, v4
.LBB10_33:
	s_or_b64 exec, exec, s[0:1]
	v_or_b32_e32 v4, 0x1000, v0
	v_cmp_gt_u32_e64 s[2:3], s33, v4
                                        ; implicit-def: $vgpr5
	s_and_saveexec_b64 s[0:1], s[2:3]
	s_cbranch_execz .LBB10_35
; %bb.34:
	v_add_co_u32_e32 v4, vcc, 0x4000, v1
	v_addc_co_u32_e32 v5, vcc, 0, v2, vcc
	global_load_dword v4, v[4:5], off
	s_waitcnt vmcnt(0)
	v_xor_b32_e32 v5, 0x7fffffff, v4
.LBB10_35:
	s_or_b64 exec, exec, s[0:1]
	v_or_b32_e32 v4, 0x1100, v0
	v_cmp_gt_u32_e64 s[0:1], s33, v4
                                        ; implicit-def: $vgpr4
	s_and_saveexec_b64 s[40:41], s[0:1]
	s_cbranch_execz .LBB10_37
; %bb.36:
	v_add_co_u32_e32 v1, vcc, 0x4000, v1
	v_addc_co_u32_e32 v2, vcc, 0, v2, vcc
	global_load_dword v1, v[1:2], off offset:1024
	s_waitcnt vmcnt(0)
	v_xor_b32_e32 v4, 0x7fffffff, v1
.LBB10_37:
	s_or_b64 exec, exec, s[40:41]
	v_or_b32_e32 v1, 0xffffff00, v0
	s_mov_b64 s[40:41], 0
	v_mov_b32_e32 v2, 0
	s_movk_i32 s33, 0xeff
.LBB10_38:                              ; =>This Inner Loop Header: Depth=1
	v_add_u32_e32 v1, 0x100, v1
	v_cmp_lt_u32_e32 vcc, s33, v1
	ds_write_b32 v22, v2
	s_or_b64 s[40:41], vcc, s[40:41]
	v_add_u32_e32 v22, 0x400, v22
	s_andn2_b64 exec, exec, s[40:41]
	s_cbranch_execnz .LBB10_38
; %bb.39:
	s_or_b64 exec, exec, s[40:41]
	s_cmp_gt_u32 s45, s44
	s_cselect_b64 s[40:41], -1, 0
	s_cmp_le_u32 s45, s44
	s_waitcnt lgkmcnt(0)
	s_barrier
	s_cbranch_scc1 .LBB10_112
; %bb.40:
	v_and_b32_e32 v1, 3, v0
	v_lshlrev_b32_e32 v1, 2, v1
	s_sub_i32 s33, s45, s44
	v_mov_b32_e32 v2, 1
	s_mov_b32 s48, s33
	v_mov_b32_e32 v22, v1
	s_mov_b32 s49, s44
	s_branch .LBB10_42
.LBB10_41:                              ;   in Loop: Header=BB10_42 Depth=1
	s_or_b64 exec, exec, s[42:43]
	s_add_i32 s49, s49, 8
	s_add_i32 s48, s48, -8
	s_cmp_lt_u32 s49, s45
	v_add_u32_e32 v22, 0x1000, v22
	s_cbranch_scc0 .LBB10_44
.LBB10_42:                              ; =>This Inner Loop Header: Depth=1
	s_and_saveexec_b64 s[42:43], s[36:37]
	s_cbranch_execz .LBB10_41
; %bb.43:                               ;   in Loop: Header=BB10_42 Depth=1
	s_min_u32 s50, s48, 8
	v_lshrrev_b32_e32 v23, s49, v21
	v_bfe_u32 v23, v23, 0, s50
	v_lshl_add_u32 v23, v23, 4, v22
	ds_add_u32 v23, v2
	s_branch .LBB10_41
.LBB10_44:
	v_mov_b32_e32 v2, 1
	s_mov_b32 s42, s33
	v_mov_b32_e32 v21, v1
	s_mov_b32 s43, s44
	s_branch .LBB10_46
.LBB10_45:                              ;   in Loop: Header=BB10_46 Depth=1
	s_or_b64 exec, exec, s[36:37]
	s_add_i32 s43, s43, 8
	s_add_i32 s42, s42, -8
	s_cmp_lt_u32 s43, s45
	v_add_u32_e32 v21, 0x1000, v21
	s_cbranch_scc0 .LBB10_48
.LBB10_46:                              ; =>This Inner Loop Header: Depth=1
	s_and_saveexec_b64 s[36:37], s[34:35]
	s_cbranch_execz .LBB10_45
; %bb.47:                               ;   in Loop: Header=BB10_46 Depth=1
	s_min_u32 s48, s42, 8
	v_lshrrev_b32_e32 v22, s43, v20
	v_bfe_u32 v22, v22, 0, s48
	v_lshl_add_u32 v22, v22, 4, v21
	ds_add_u32 v22, v2
	s_branch .LBB10_45
.LBB10_48:
	;; [unrolled: 23-line block ×15, first 2 shown]
	v_mov_b32_e32 v2, 1
	s_mov_b32 s8, s33
	v_mov_b32_e32 v7, v1
	s_mov_b32 s9, s44
	s_branch .LBB10_102
.LBB10_101:                             ;   in Loop: Header=BB10_102 Depth=1
	s_or_b64 exec, exec, s[6:7]
	s_add_i32 s9, s9, 8
	s_add_i32 s8, s8, -8
	s_cmp_lt_u32 s9, s45
	v_add_u32_e32 v7, 0x1000, v7
	s_cbranch_scc0 .LBB10_104
.LBB10_102:                             ; =>This Inner Loop Header: Depth=1
	s_and_saveexec_b64 s[6:7], s[4:5]
	s_cbranch_execz .LBB10_101
; %bb.103:                              ;   in Loop: Header=BB10_102 Depth=1
	s_min_u32 s10, s8, 8
	v_lshrrev_b32_e32 v8, s9, v6
	v_bfe_u32 v8, v8, 0, s10
	v_lshl_add_u32 v8, v8, 4, v7
	ds_add_u32 v8, v2
	s_branch .LBB10_101
.LBB10_104:
	v_mov_b32_e32 v2, 1
	s_mov_b32 s6, s33
	v_mov_b32_e32 v6, v1
	s_mov_b32 s7, s44
	s_branch .LBB10_106
.LBB10_105:                             ;   in Loop: Header=BB10_106 Depth=1
	s_or_b64 exec, exec, s[4:5]
	s_add_i32 s7, s7, 8
	s_add_i32 s6, s6, -8
	s_cmp_lt_u32 s7, s45
	v_add_u32_e32 v6, 0x1000, v6
	s_cbranch_scc0 .LBB10_108
.LBB10_106:                             ; =>This Inner Loop Header: Depth=1
	s_and_saveexec_b64 s[4:5], s[2:3]
	s_cbranch_execz .LBB10_105
; %bb.107:                              ;   in Loop: Header=BB10_106 Depth=1
	s_min_u32 s8, s6, 8
	v_lshrrev_b32_e32 v7, s7, v5
	v_bfe_u32 v7, v7, 0, s8
	v_lshl_add_u32 v7, v7, 4, v6
	ds_add_u32 v7, v2
	s_branch .LBB10_105
.LBB10_108:
	v_mov_b32_e32 v2, 1
	s_mov_b32 s4, s44
	s_branch .LBB10_110
.LBB10_109:                             ;   in Loop: Header=BB10_110 Depth=1
	s_or_b64 exec, exec, s[2:3]
	s_add_i32 s4, s4, 8
	s_add_i32 s33, s33, -8
	s_cmp_lt_u32 s4, s45
	v_add_u32_e32 v1, 0x1000, v1
	s_cbranch_scc0 .LBB10_112
.LBB10_110:                             ; =>This Inner Loop Header: Depth=1
	s_and_saveexec_b64 s[2:3], s[0:1]
	s_cbranch_execz .LBB10_109
; %bb.111:                              ;   in Loop: Header=BB10_110 Depth=1
	s_min_u32 s5, s33, 8
	v_lshrrev_b32_e32 v5, s4, v4
	v_bfe_u32 v5, v5, 0, s5
	v_lshl_add_u32 v5, v5, 4, v1
	ds_add_u32 v5, v2
	s_branch .LBB10_109
.LBB10_112:
	s_and_b64 vcc, exec, s[40:41]
	s_waitcnt lgkmcnt(0)
	s_barrier
	s_cbranch_vccz .LBB10_117
; %bb.113:
	s_movk_i32 s0, 0x100
	v_cmp_gt_u32_e32 vcc, s0, v0
	v_lshlrev_b32_e32 v4, 4, v0
	v_mov_b32_e32 v2, 0
	v_mov_b32_e32 v1, v0
	s_mov_b32 s4, s44
	s_branch .LBB10_115
.LBB10_114:                             ;   in Loop: Header=BB10_115 Depth=1
	s_or_b64 exec, exec, s[2:3]
	s_add_i32 s4, s4, 8
	v_add_u32_e32 v1, 0x100, v1
	s_cmp_lt_u32 s4, s45
	v_add_u32_e32 v4, 0x1000, v4
	s_cbranch_scc0 .LBB10_117
.LBB10_115:                             ; =>This Inner Loop Header: Depth=1
	s_and_saveexec_b64 s[2:3], vcc
	s_cbranch_execz .LBB10_114
; %bb.116:                              ;   in Loop: Header=BB10_115 Depth=1
	ds_read2_b32 v[5:6], v4 offset1:1
	ds_read2_b32 v[7:8], v4 offset0:2 offset1:3
	v_lshlrev_b64 v[9:10], 3, v[1:2]
	v_mov_b32_e32 v11, s39
	s_waitcnt lgkmcnt(1)
	v_add_u32_e32 v5, v6, v5
	s_waitcnt lgkmcnt(0)
	v_add3_u32 v5, v5, v7, v8
	v_add_co_u32_e64 v7, s[0:1], s38, v9
	v_addc_co_u32_e64 v8, s[0:1], v11, v10, s[0:1]
	v_mov_b32_e32 v6, v2
	global_atomic_add_x2 v[7:8], v[5:6], off
	s_branch .LBB10_114
.LBB10_117:
	s_mov_b64 s[0:1], 0
.LBB10_118:
	s_and_b64 vcc, exec, s[0:1]
	s_cbranch_vccz .LBB10_170
; %bb.119:
	v_mov_b32_e32 v1, s47
	v_add_co_u32_e32 v16, vcc, s46, v3
	v_addc_co_u32_e32 v17, vcc, 0, v1, vcc
	v_add_co_u32_e32 v1, vcc, 0x1000, v16
	v_addc_co_u32_e32 v2, vcc, 0, v17, vcc
	;; [unrolled: 2-line block ×3, first 2 shown]
	global_load_dword v4, v3, s[46:47] offset:2048
	global_load_dword v5, v3, s[46:47] offset:3072
	global_load_dword v6, v[1:2], off
	global_load_dword v7, v[1:2], off offset:1024
	global_load_dword v8, v[1:2], off offset:2048
	;; [unrolled: 1-line block ×3, first 2 shown]
	global_load_dword v10, v[14:15], off
	global_load_dword v11, v[14:15], off offset:1024
	global_load_dword v12, v[14:15], off offset:2048
	;; [unrolled: 1-line block ×3, first 2 shown]
	v_add_co_u32_e32 v1, vcc, 0x3000, v16
	v_addc_co_u32_e32 v2, vcc, 0, v17, vcc
	v_add_co_u32_e32 v22, vcc, 0x4000, v16
	v_addc_co_u32_e32 v23, vcc, 0, v17, vcc
	global_load_dword v20, v3, s[46:47]
	global_load_dword v21, v3, s[46:47] offset:1024
	global_load_dword v14, v[1:2], off
	global_load_dword v15, v[1:2], off offset:1024
	global_load_dword v16, v[1:2], off offset:2048
	;; [unrolled: 1-line block ×3, first 2 shown]
	global_load_dword v18, v[22:23], off
	global_load_dword v19, v[22:23], off offset:1024
	s_cmp_eq_u32 s44, 0
	s_cselect_b64 s[0:1], -1, 0
	s_cmp_eq_u32 s45, 32
	s_cselect_b64 s[2:3], -1, 0
	s_and_b64 s[2:3], s[0:1], s[2:3]
	v_mov_b32_e32 v1, 0
	s_mov_b64 s[0:1], -1
	s_and_b64 vcc, exec, s[2:3]
	s_cbranch_vccnz .LBB10_165
; %bb.120:
	v_or_b32_e32 v2, 0xffffff00, v0
	s_mov_b64 s[0:1], 0
	s_movk_i32 s2, 0xeff
.LBB10_121:                             ; =>This Inner Loop Header: Depth=1
	v_add_u32_e32 v2, 0x100, v2
	v_cmp_lt_u32_e32 vcc, s2, v2
	ds_write_b32 v3, v1
	s_or_b64 s[0:1], vcc, s[0:1]
	v_add_u32_e32 v3, 0x400, v3
	s_andn2_b64 exec, exec, s[0:1]
	s_cbranch_execnz .LBB10_121
; %bb.122:
	s_or_b64 exec, exec, s[0:1]
	s_cmp_gt_u32 s45, s44
	s_cselect_b64 s[0:1], -1, 0
	s_cmp_le_u32 s45, s44
	s_waitcnt vmcnt(0) lgkmcnt(0)
	s_barrier
	s_cbranch_scc1 .LBB10_159
; %bb.123:
	v_and_b32_e32 v1, 3, v0
	v_lshlrev_b32_e32 v1, 2, v1
	s_sub_i32 s2, s45, s44
	v_xor_b32_e32 v2, 0x7fffffff, v20
	v_mov_b32_e32 v3, 1
	s_mov_b32 s3, s2
	v_mov_b32_e32 v22, v1
	s_mov_b32 s4, s44
.LBB10_124:                             ; =>This Inner Loop Header: Depth=1
	s_min_u32 s5, s3, 8
	v_lshrrev_b32_e32 v23, s4, v2
	v_bfe_u32 v23, v23, 0, s5
	v_lshl_add_u32 v23, v23, 4, v22
	ds_add_u32 v23, v3
	s_add_i32 s4, s4, 8
	s_add_i32 s3, s3, -8
	s_cmp_lt_u32 s4, s45
	v_add_u32_e32 v22, 0x1000, v22
	s_cbranch_scc1 .LBB10_124
; %bb.125:
	v_xor_b32_e32 v2, 0x7fffffff, v21
	v_mov_b32_e32 v3, 1
	s_mov_b32 s3, s2
	v_mov_b32_e32 v22, v1
	s_mov_b32 s4, s44
.LBB10_126:                             ; =>This Inner Loop Header: Depth=1
	s_min_u32 s5, s3, 8
	v_lshrrev_b32_e32 v23, s4, v2
	v_bfe_u32 v23, v23, 0, s5
	v_lshl_add_u32 v23, v23, 4, v22
	ds_add_u32 v23, v3
	s_add_i32 s4, s4, 8
	s_add_i32 s3, s3, -8
	s_cmp_lt_u32 s4, s45
	v_add_u32_e32 v22, 0x1000, v22
	s_cbranch_scc1 .LBB10_126
; %bb.127:
	;; [unrolled: 17-line block ×17, first 2 shown]
	v_xor_b32_e32 v2, 0x7fffffff, v19
	v_mov_b32_e32 v3, 1
	s_mov_b32 s3, s44
.LBB10_158:                             ; =>This Inner Loop Header: Depth=1
	s_min_u32 s4, s2, 8
	v_lshrrev_b32_e32 v22, s3, v2
	v_bfe_u32 v22, v22, 0, s4
	v_lshl_add_u32 v22, v22, 4, v1
	ds_add_u32 v22, v3
	s_add_i32 s3, s3, 8
	s_add_i32 s2, s2, -8
	s_cmp_lt_u32 s3, s45
	v_add_u32_e32 v1, 0x1000, v1
	s_cbranch_scc1 .LBB10_158
.LBB10_159:
	s_and_b64 vcc, exec, s[0:1]
	s_waitcnt lgkmcnt(0)
	s_barrier
	s_cbranch_vccz .LBB10_164
; %bb.160:
	s_movk_i32 s0, 0x100
	v_cmp_gt_u32_e32 vcc, s0, v0
	v_lshlrev_b32_e32 v3, 4, v0
	v_mov_b32_e32 v2, 0
	v_mov_b32_e32 v1, v0
	s_branch .LBB10_162
.LBB10_161:                             ;   in Loop: Header=BB10_162 Depth=1
	s_or_b64 exec, exec, s[2:3]
	s_add_i32 s44, s44, 8
	v_add_u32_e32 v1, 0x100, v1
	s_cmp_ge_u32 s44, s45
	v_add_u32_e32 v3, 0x1000, v3
	s_cbranch_scc1 .LBB10_164
.LBB10_162:                             ; =>This Inner Loop Header: Depth=1
	s_and_saveexec_b64 s[2:3], vcc
	s_cbranch_execz .LBB10_161
; %bb.163:                              ;   in Loop: Header=BB10_162 Depth=1
	ds_read2_b32 v[22:23], v3 offset1:1
	ds_read2_b32 v[24:25], v3 offset0:2 offset1:3
	v_lshlrev_b64 v[26:27], 3, v[1:2]
	v_mov_b32_e32 v28, s39
	s_waitcnt lgkmcnt(1)
	v_add_u32_e32 v22, v23, v22
	s_waitcnt lgkmcnt(0)
	v_add3_u32 v22, v22, v24, v25
	v_add_co_u32_e64 v24, s[0:1], s38, v26
	v_addc_co_u32_e64 v25, s[0:1], v28, v27, s[0:1]
	v_mov_b32_e32 v23, v2
	global_atomic_add_x2 v[24:25], v[22:23], off
	s_branch .LBB10_161
.LBB10_164:
	s_mov_b64 s[0:1], 0
.LBB10_165:
	s_and_b64 vcc, exec, s[0:1]
	s_cbranch_vccz .LBB10_170
; %bb.166:
	v_or_b32_e32 v1, 0xffffff00, v0
	v_lshlrev_b32_e32 v2, 2, v0
	s_mov_b64 s[0:1], 0
	v_mov_b32_e32 v3, 0
	s_movk_i32 s2, 0xeff
.LBB10_167:                             ; =>This Inner Loop Header: Depth=1
	v_add_u32_e32 v1, 0x100, v1
	v_cmp_lt_u32_e32 vcc, s2, v1
	ds_write_b32 v2, v3
	s_or_b64 s[0:1], vcc, s[0:1]
	v_add_u32_e32 v2, 0x400, v2
	s_andn2_b64 exec, exec, s[0:1]
	s_cbranch_execnz .LBB10_167
; %bb.168:
	s_or_b64 exec, exec, s[0:1]
	s_waitcnt vmcnt(7)
	v_xor_b32_e32 v1, 0x7fffffff, v20
	v_xor_b32_e32 v3, 0x7fffffff, v4
	;; [unrolled: 1-line block ×11, first 2 shown]
	s_waitcnt vmcnt(5)
	v_xor_b32_e32 v13, 0x7fffffff, v14
	s_waitcnt vmcnt(4)
	v_xor_b32_e32 v14, 0x7fffffff, v15
	;; [unrolled: 2-line block ×6, first 2 shown]
	v_and_b32_e32 v19, 3, v0
	v_lshlrev_b32_e32 v20, 4, v1
	v_lshlrev_b32_e32 v19, 2, v19
	s_movk_i32 s0, 0xff0
	v_xor_b32_e32 v2, 0x7fffffff, v21
	v_and_or_b32 v20, v20, s0, v19
	v_mov_b32_e32 v21, 1
	s_waitcnt lgkmcnt(0)
	s_barrier
	ds_add_u32 v20, v21
	v_bfe_u32 v20, v1, 8, 8
	v_lshl_or_b32 v20, v20, 4, v19
	ds_add_u32 v20, v21 offset:4096
	v_bfe_u32 v20, v1, 16, 8
	v_lshl_or_b32 v20, v20, 4, v19
	v_lshrrev_b32_e32 v1, 24, v1
	ds_add_u32 v20, v21 offset:8192
	v_lshl_or_b32 v1, v1, 4, v19
	ds_add_u32 v1, v21 offset:12288
	v_lshlrev_b32_e32 v1, 4, v2
	v_and_or_b32 v1, v1, s0, v19
	ds_add_u32 v1, v21
	v_bfe_u32 v1, v2, 8, 8
	v_lshl_or_b32 v1, v1, 4, v19
	ds_add_u32 v1, v21 offset:4096
	v_bfe_u32 v1, v2, 16, 8
	v_lshl_or_b32 v1, v1, 4, v19
	ds_add_u32 v1, v21 offset:8192
	v_lshrrev_b32_e32 v1, 24, v2
	v_lshl_or_b32 v1, v1, 4, v19
	ds_add_u32 v1, v21 offset:12288
	v_lshlrev_b32_e32 v1, 4, v3
	v_and_or_b32 v1, v1, s0, v19
	ds_add_u32 v1, v21
	v_bfe_u32 v1, v3, 8, 8
	v_lshl_or_b32 v1, v1, 4, v19
	ds_add_u32 v1, v21 offset:4096
	v_bfe_u32 v1, v3, 16, 8
	v_lshl_or_b32 v1, v1, 4, v19
	ds_add_u32 v1, v21 offset:8192
	v_lshrrev_b32_e32 v1, 24, v3
	;; [unrolled: 12-line block ×17, first 2 shown]
	v_lshl_or_b32 v1, v1, 4, v19
	ds_add_u32 v1, v21 offset:12288
	s_movk_i32 s0, 0x100
	v_cmp_gt_u32_e32 vcc, s0, v0
	s_waitcnt lgkmcnt(0)
	s_barrier
	s_and_saveexec_b64 s[0:1], vcc
	s_cbranch_execz .LBB10_170
; %bb.169:
	v_lshlrev_b32_e32 v6, 4, v0
	ds_read2_b32 v[1:2], v6 offset1:1
	ds_read2_b32 v[3:4], v6 offset0:2 offset1:3
	v_lshlrev_b32_e32 v7, 3, v0
	v_mov_b32_e32 v5, 0
	v_or_b32_e32 v0, 0x1000, v6
	s_waitcnt lgkmcnt(1)
	v_add_u32_e32 v1, v2, v1
	s_waitcnt lgkmcnt(0)
	v_add3_u32 v4, v1, v3, v4
	global_atomic_add_x2 v7, v[4:5], s[38:39]
	v_or_b32_e32 v2, 0x1008, v6
	ds_read2_b32 v[0:1], v0 offset1:1
	ds_read2_b32 v[2:3], v2 offset1:1
	v_or_b32_e32 v9, 0x2000, v6
	v_mov_b32_e32 v8, s39
	s_movk_i32 s0, 0x1000
	s_waitcnt lgkmcnt(1)
	v_add_u32_e32 v0, v1, v0
	s_waitcnt lgkmcnt(0)
	v_add3_u32 v4, v0, v2, v3
	global_atomic_add_x2 v7, v[4:5], s[38:39] offset:2048
	v_or_b32_e32 v2, 0x2008, v6
	ds_read2_b32 v[0:1], v9 offset1:1
	ds_read2_b32 v[2:3], v2 offset1:1
	v_add_co_u32_e32 v7, vcc, s38, v7
	v_addc_co_u32_e32 v8, vcc, 0, v8, vcc
	s_waitcnt lgkmcnt(1)
	v_add_u32_e32 v0, v1, v0
	s_waitcnt lgkmcnt(0)
	v_add3_u32 v4, v0, v2, v3
	v_add_co_u32_e32 v0, vcc, s0, v7
	v_addc_co_u32_e32 v1, vcc, 0, v8, vcc
	global_atomic_add_x2 v[0:1], v[4:5], off
	v_or_b32_e32 v2, 0x3000, v6
	v_or_b32_e32 v4, 0x3008, v6
	ds_read2_b32 v[2:3], v2 offset1:1
	ds_read2_b32 v[6:7], v4 offset1:1
	s_waitcnt lgkmcnt(1)
	v_add_u32_e32 v2, v3, v2
	s_waitcnt lgkmcnt(0)
	v_add3_u32 v4, v2, v6, v7
	global_atomic_add_x2 v[0:1], v[4:5], off offset:2048
.LBB10_170:
	s_endpgm
	.section	.rodata,"a",@progbits
	.p2align	6, 0x0
	.amdhsa_kernel _ZN7rocprim17ROCPRIM_304000_NS6detail26onesweep_histograms_kernelINS1_34wrapped_radix_sort_onesweep_configINS0_14default_configEiN2at4cuda3cub6detail10OpaqueTypeILi2EEEEELb1EPKimNS0_19identity_decomposerEEEvT1_PT2_SG_SG_T3_jj
		.amdhsa_group_segment_fixed_size 16384
		.amdhsa_private_segment_fixed_size 0
		.amdhsa_kernarg_size 44
		.amdhsa_user_sgpr_count 6
		.amdhsa_user_sgpr_private_segment_buffer 1
		.amdhsa_user_sgpr_dispatch_ptr 0
		.amdhsa_user_sgpr_queue_ptr 0
		.amdhsa_user_sgpr_kernarg_segment_ptr 1
		.amdhsa_user_sgpr_dispatch_id 0
		.amdhsa_user_sgpr_flat_scratch_init 0
		.amdhsa_user_sgpr_private_segment_size 0
		.amdhsa_uses_dynamic_stack 0
		.amdhsa_system_sgpr_private_segment_wavefront_offset 0
		.amdhsa_system_sgpr_workgroup_id_x 1
		.amdhsa_system_sgpr_workgroup_id_y 0
		.amdhsa_system_sgpr_workgroup_id_z 0
		.amdhsa_system_sgpr_workgroup_info 0
		.amdhsa_system_vgpr_workitem_id 0
		.amdhsa_next_free_vgpr 49
		.amdhsa_next_free_sgpr 98
		.amdhsa_reserve_vcc 1
		.amdhsa_reserve_flat_scratch 0
		.amdhsa_float_round_mode_32 0
		.amdhsa_float_round_mode_16_64 0
		.amdhsa_float_denorm_mode_32 3
		.amdhsa_float_denorm_mode_16_64 3
		.amdhsa_dx10_clamp 1
		.amdhsa_ieee_mode 1
		.amdhsa_fp16_overflow 0
		.amdhsa_exception_fp_ieee_invalid_op 0
		.amdhsa_exception_fp_denorm_src 0
		.amdhsa_exception_fp_ieee_div_zero 0
		.amdhsa_exception_fp_ieee_overflow 0
		.amdhsa_exception_fp_ieee_underflow 0
		.amdhsa_exception_fp_ieee_inexact 0
		.amdhsa_exception_int_div_zero 0
	.end_amdhsa_kernel
	.section	.text._ZN7rocprim17ROCPRIM_304000_NS6detail26onesweep_histograms_kernelINS1_34wrapped_radix_sort_onesweep_configINS0_14default_configEiN2at4cuda3cub6detail10OpaqueTypeILi2EEEEELb1EPKimNS0_19identity_decomposerEEEvT1_PT2_SG_SG_T3_jj,"axG",@progbits,_ZN7rocprim17ROCPRIM_304000_NS6detail26onesweep_histograms_kernelINS1_34wrapped_radix_sort_onesweep_configINS0_14default_configEiN2at4cuda3cub6detail10OpaqueTypeILi2EEEEELb1EPKimNS0_19identity_decomposerEEEvT1_PT2_SG_SG_T3_jj,comdat
.Lfunc_end10:
	.size	_ZN7rocprim17ROCPRIM_304000_NS6detail26onesweep_histograms_kernelINS1_34wrapped_radix_sort_onesweep_configINS0_14default_configEiN2at4cuda3cub6detail10OpaqueTypeILi2EEEEELb1EPKimNS0_19identity_decomposerEEEvT1_PT2_SG_SG_T3_jj, .Lfunc_end10-_ZN7rocprim17ROCPRIM_304000_NS6detail26onesweep_histograms_kernelINS1_34wrapped_radix_sort_onesweep_configINS0_14default_configEiN2at4cuda3cub6detail10OpaqueTypeILi2EEEEELb1EPKimNS0_19identity_decomposerEEEvT1_PT2_SG_SG_T3_jj
                                        ; -- End function
	.set _ZN7rocprim17ROCPRIM_304000_NS6detail26onesweep_histograms_kernelINS1_34wrapped_radix_sort_onesweep_configINS0_14default_configEiN2at4cuda3cub6detail10OpaqueTypeILi2EEEEELb1EPKimNS0_19identity_decomposerEEEvT1_PT2_SG_SG_T3_jj.num_vgpr, 29
	.set _ZN7rocprim17ROCPRIM_304000_NS6detail26onesweep_histograms_kernelINS1_34wrapped_radix_sort_onesweep_configINS0_14default_configEiN2at4cuda3cub6detail10OpaqueTypeILi2EEEEELb1EPKimNS0_19identity_decomposerEEEvT1_PT2_SG_SG_T3_jj.num_agpr, 0
	.set _ZN7rocprim17ROCPRIM_304000_NS6detail26onesweep_histograms_kernelINS1_34wrapped_radix_sort_onesweep_configINS0_14default_configEiN2at4cuda3cub6detail10OpaqueTypeILi2EEEEELb1EPKimNS0_19identity_decomposerEEEvT1_PT2_SG_SG_T3_jj.numbered_sgpr, 51
	.set _ZN7rocprim17ROCPRIM_304000_NS6detail26onesweep_histograms_kernelINS1_34wrapped_radix_sort_onesweep_configINS0_14default_configEiN2at4cuda3cub6detail10OpaqueTypeILi2EEEEELb1EPKimNS0_19identity_decomposerEEEvT1_PT2_SG_SG_T3_jj.num_named_barrier, 0
	.set _ZN7rocprim17ROCPRIM_304000_NS6detail26onesweep_histograms_kernelINS1_34wrapped_radix_sort_onesweep_configINS0_14default_configEiN2at4cuda3cub6detail10OpaqueTypeILi2EEEEELb1EPKimNS0_19identity_decomposerEEEvT1_PT2_SG_SG_T3_jj.private_seg_size, 0
	.set _ZN7rocprim17ROCPRIM_304000_NS6detail26onesweep_histograms_kernelINS1_34wrapped_radix_sort_onesweep_configINS0_14default_configEiN2at4cuda3cub6detail10OpaqueTypeILi2EEEEELb1EPKimNS0_19identity_decomposerEEEvT1_PT2_SG_SG_T3_jj.uses_vcc, 1
	.set _ZN7rocprim17ROCPRIM_304000_NS6detail26onesweep_histograms_kernelINS1_34wrapped_radix_sort_onesweep_configINS0_14default_configEiN2at4cuda3cub6detail10OpaqueTypeILi2EEEEELb1EPKimNS0_19identity_decomposerEEEvT1_PT2_SG_SG_T3_jj.uses_flat_scratch, 0
	.set _ZN7rocprim17ROCPRIM_304000_NS6detail26onesweep_histograms_kernelINS1_34wrapped_radix_sort_onesweep_configINS0_14default_configEiN2at4cuda3cub6detail10OpaqueTypeILi2EEEEELb1EPKimNS0_19identity_decomposerEEEvT1_PT2_SG_SG_T3_jj.has_dyn_sized_stack, 0
	.set _ZN7rocprim17ROCPRIM_304000_NS6detail26onesweep_histograms_kernelINS1_34wrapped_radix_sort_onesweep_configINS0_14default_configEiN2at4cuda3cub6detail10OpaqueTypeILi2EEEEELb1EPKimNS0_19identity_decomposerEEEvT1_PT2_SG_SG_T3_jj.has_recursion, 0
	.set _ZN7rocprim17ROCPRIM_304000_NS6detail26onesweep_histograms_kernelINS1_34wrapped_radix_sort_onesweep_configINS0_14default_configEiN2at4cuda3cub6detail10OpaqueTypeILi2EEEEELb1EPKimNS0_19identity_decomposerEEEvT1_PT2_SG_SG_T3_jj.has_indirect_call, 0
	.section	.AMDGPU.csdata,"",@progbits
; Kernel info:
; codeLenInByte = 7116
; TotalNumSgprs: 55
; NumVgprs: 29
; ScratchSize: 0
; MemoryBound: 0
; FloatMode: 240
; IeeeMode: 1
; LDSByteSize: 16384 bytes/workgroup (compile time only)
; SGPRBlocks: 12
; VGPRBlocks: 12
; NumSGPRsForWavesPerEU: 102
; NumVGPRsForWavesPerEU: 49
; Occupancy: 4
; WaveLimiterHint : 1
; COMPUTE_PGM_RSRC2:SCRATCH_EN: 0
; COMPUTE_PGM_RSRC2:USER_SGPR: 6
; COMPUTE_PGM_RSRC2:TRAP_HANDLER: 0
; COMPUTE_PGM_RSRC2:TGID_X_EN: 1
; COMPUTE_PGM_RSRC2:TGID_Y_EN: 0
; COMPUTE_PGM_RSRC2:TGID_Z_EN: 0
; COMPUTE_PGM_RSRC2:TIDIG_COMP_CNT: 0
	.section	.text._ZN7rocprim17ROCPRIM_304000_NS6detail31onesweep_scan_histograms_kernelINS1_34wrapped_radix_sort_onesweep_configINS0_14default_configEiN2at4cuda3cub6detail10OpaqueTypeILi2EEEEEmEEvPT0_,"axG",@progbits,_ZN7rocprim17ROCPRIM_304000_NS6detail31onesweep_scan_histograms_kernelINS1_34wrapped_radix_sort_onesweep_configINS0_14default_configEiN2at4cuda3cub6detail10OpaqueTypeILi2EEEEEmEEvPT0_,comdat
	.protected	_ZN7rocprim17ROCPRIM_304000_NS6detail31onesweep_scan_histograms_kernelINS1_34wrapped_radix_sort_onesweep_configINS0_14default_configEiN2at4cuda3cub6detail10OpaqueTypeILi2EEEEEmEEvPT0_ ; -- Begin function _ZN7rocprim17ROCPRIM_304000_NS6detail31onesweep_scan_histograms_kernelINS1_34wrapped_radix_sort_onesweep_configINS0_14default_configEiN2at4cuda3cub6detail10OpaqueTypeILi2EEEEEmEEvPT0_
	.globl	_ZN7rocprim17ROCPRIM_304000_NS6detail31onesweep_scan_histograms_kernelINS1_34wrapped_radix_sort_onesweep_configINS0_14default_configEiN2at4cuda3cub6detail10OpaqueTypeILi2EEEEEmEEvPT0_
	.p2align	8
	.type	_ZN7rocprim17ROCPRIM_304000_NS6detail31onesweep_scan_histograms_kernelINS1_34wrapped_radix_sort_onesweep_configINS0_14default_configEiN2at4cuda3cub6detail10OpaqueTypeILi2EEEEEmEEvPT0_,@function
_ZN7rocprim17ROCPRIM_304000_NS6detail31onesweep_scan_histograms_kernelINS1_34wrapped_radix_sort_onesweep_configINS0_14default_configEiN2at4cuda3cub6detail10OpaqueTypeILi2EEEEEmEEvPT0_: ; @_ZN7rocprim17ROCPRIM_304000_NS6detail31onesweep_scan_histograms_kernelINS1_34wrapped_radix_sort_onesweep_configINS0_14default_configEiN2at4cuda3cub6detail10OpaqueTypeILi2EEEEEmEEvPT0_
; %bb.0:
	s_load_dwordx2 s[0:1], s[4:5], 0x0
	s_lshl_b32 s2, s6, 8
	s_mov_b32 s3, 0
	s_lshl_b64 s[2:3], s[2:3], 3
	v_lshlrev_b32_e32 v5, 3, v0
	s_waitcnt lgkmcnt(0)
	s_add_u32 s2, s0, s2
	s_movk_i32 s0, 0x100
	s_addc_u32 s3, s1, s3
	v_cmp_gt_u32_e32 vcc, s0, v0
                                        ; implicit-def: $vgpr1_vgpr2
	s_and_saveexec_b64 s[0:1], vcc
	s_cbranch_execz .LBB11_2
; %bb.1:
	global_load_dwordx2 v[1:2], v5, s[2:3]
.LBB11_2:
	s_or_b64 exec, exec, s[0:1]
	v_mbcnt_lo_u32_b32 v3, -1, 0
	v_mbcnt_hi_u32_b32 v6, -1, v3
	v_and_b32_e32 v4, 15, v6
	s_waitcnt vmcnt(0)
	v_mov_b32_dpp v8, v1 row_shr:1 row_mask:0xf bank_mask:0xf
	v_mov_b32_dpp v7, v2 row_shr:1 row_mask:0xf bank_mask:0xf
	v_cmp_ne_u32_e64 s[0:1], 0, v4
	v_mov_b32_e32 v3, v1
	s_and_saveexec_b64 s[4:5], s[0:1]
; %bb.3:
	v_add_co_u32_e64 v3, s[0:1], v1, v8
	v_addc_co_u32_e64 v2, s[0:1], 0, v2, s[0:1]
	v_add_co_u32_e64 v1, s[0:1], 0, v3
	v_addc_co_u32_e64 v2, s[0:1], v7, v2, s[0:1]
; %bb.4:
	s_or_b64 exec, exec, s[4:5]
	v_mov_b32_dpp v8, v3 row_shr:2 row_mask:0xf bank_mask:0xf
	v_mov_b32_dpp v7, v2 row_shr:2 row_mask:0xf bank_mask:0xf
	v_cmp_lt_u32_e64 s[0:1], 1, v4
	s_and_saveexec_b64 s[4:5], s[0:1]
; %bb.5:
	v_add_co_u32_e64 v3, s[0:1], v1, v8
	v_addc_co_u32_e64 v2, s[0:1], 0, v2, s[0:1]
	v_add_co_u32_e64 v1, s[0:1], 0, v3
	v_addc_co_u32_e64 v2, s[0:1], v7, v2, s[0:1]
; %bb.6:
	s_or_b64 exec, exec, s[4:5]
	v_mov_b32_dpp v8, v3 row_shr:4 row_mask:0xf bank_mask:0xf
	v_mov_b32_dpp v7, v2 row_shr:4 row_mask:0xf bank_mask:0xf
	v_cmp_lt_u32_e64 s[0:1], 3, v4
	;; [unrolled: 11-line block ×3, first 2 shown]
	s_and_saveexec_b64 s[4:5], s[0:1]
; %bb.9:
	v_add_co_u32_e64 v3, s[0:1], v1, v8
	v_addc_co_u32_e64 v2, s[0:1], 0, v2, s[0:1]
	v_add_co_u32_e64 v1, s[0:1], 0, v3
	v_addc_co_u32_e64 v2, s[0:1], v7, v2, s[0:1]
; %bb.10:
	s_or_b64 exec, exec, s[4:5]
	v_and_b32_e32 v8, 16, v6
	v_mov_b32_dpp v7, v3 row_bcast:15 row_mask:0xf bank_mask:0xf
	v_mov_b32_dpp v4, v2 row_bcast:15 row_mask:0xf bank_mask:0xf
	v_cmp_ne_u32_e64 s[0:1], 0, v8
	s_and_saveexec_b64 s[4:5], s[0:1]
; %bb.11:
	v_add_co_u32_e64 v3, s[0:1], v1, v7
	v_addc_co_u32_e64 v2, s[0:1], 0, v2, s[0:1]
	v_add_co_u32_e64 v1, s[0:1], 0, v3
	v_addc_co_u32_e64 v2, s[0:1], v4, v2, s[0:1]
; %bb.12:
	s_or_b64 exec, exec, s[4:5]
	v_mov_b32_dpp v3, v3 row_bcast:31 row_mask:0xf bank_mask:0xf
	v_add_co_u32_e64 v3, s[0:1], v1, v3
	v_addc_co_u32_e64 v7, s[0:1], 0, v2, s[0:1]
	v_mov_b32_dpp v4, v2 row_bcast:31 row_mask:0xf bank_mask:0xf
	v_add_co_u32_e64 v3, s[0:1], 0, v3
	v_addc_co_u32_e64 v4, s[0:1], v7, v4, s[0:1]
	v_cmp_lt_u32_e64 s[0:1], 31, v6
	v_cndmask_b32_e64 v1, v1, v3, s[0:1]
	v_or_b32_e32 v3, 63, v0
	v_cndmask_b32_e64 v2, v2, v4, s[0:1]
	v_lshrrev_b32_e32 v7, 6, v0
	v_cmp_eq_u32_e64 s[0:1], v0, v3
	s_and_saveexec_b64 s[4:5], s[0:1]
; %bb.13:
	v_lshlrev_b32_e32 v3, 3, v7
	ds_write_b64 v3, v[1:2]
; %bb.14:
	s_or_b64 exec, exec, s[4:5]
	v_cmp_gt_u32_e64 s[0:1], 4, v0
	s_waitcnt lgkmcnt(0)
	s_barrier
	s_and_saveexec_b64 s[4:5], s[0:1]
	s_cbranch_execz .LBB11_18
; %bb.15:
	ds_read_b64 v[3:4], v5
	v_and_b32_e32 v8, 3, v6
	v_cmp_ne_u32_e64 s[0:1], 0, v8
	s_waitcnt lgkmcnt(0)
	v_mov_b32_dpp v11, v3 row_shr:1 row_mask:0xf bank_mask:0xf
	v_mov_b32_dpp v10, v4 row_shr:1 row_mask:0xf bank_mask:0xf
	v_mov_b32_e32 v9, v3
	s_and_saveexec_b64 s[6:7], s[0:1]
; %bb.16:
	v_add_co_u32_e64 v9, s[0:1], v3, v11
	v_addc_co_u32_e64 v4, s[0:1], 0, v4, s[0:1]
	v_add_co_u32_e64 v3, s[0:1], 0, v9
	v_addc_co_u32_e64 v4, s[0:1], v10, v4, s[0:1]
; %bb.17:
	s_or_b64 exec, exec, s[6:7]
	v_mov_b32_dpp v9, v9 row_shr:2 row_mask:0xf bank_mask:0xf
	v_cmp_lt_u32_e64 s[0:1], 1, v8
	v_mov_b32_dpp v10, v4 row_shr:2 row_mask:0xf bank_mask:0xf
	v_cndmask_b32_e64 v9, 0, v9, s[0:1]
	v_cndmask_b32_e64 v8, 0, v10, s[0:1]
	v_add_co_u32_e64 v3, s[0:1], v9, v3
	v_addc_co_u32_e64 v4, s[0:1], v8, v4, s[0:1]
	ds_write_b64 v5, v[3:4]
.LBB11_18:
	s_or_b64 exec, exec, s[4:5]
	v_mov_b32_e32 v3, 0
	v_mov_b32_e32 v4, 0
	v_cmp_lt_u32_e64 s[0:1], 63, v0
	s_waitcnt lgkmcnt(0)
	s_barrier
	s_and_saveexec_b64 s[4:5], s[0:1]
; %bb.19:
	v_lshl_add_u32 v0, v7, 3, -8
	ds_read_b64 v[3:4], v0
; %bb.20:
	s_or_b64 exec, exec, s[4:5]
	s_waitcnt lgkmcnt(0)
	v_add_co_u32_e64 v0, s[0:1], v3, v1
	v_addc_co_u32_e64 v1, s[0:1], v4, v2, s[0:1]
	v_add_u32_e32 v2, -1, v6
	v_and_b32_e32 v7, 64, v6
	v_cmp_lt_i32_e64 s[0:1], v2, v7
	v_cndmask_b32_e64 v2, v2, v6, s[0:1]
	v_lshlrev_b32_e32 v2, 2, v2
	ds_bpermute_b32 v0, v2, v0
	ds_bpermute_b32 v1, v2, v1
	s_and_saveexec_b64 s[0:1], vcc
	s_cbranch_execz .LBB11_22
; %bb.21:
	v_cmp_eq_u32_e32 vcc, 0, v6
	s_waitcnt lgkmcnt(0)
	v_cndmask_b32_e32 v1, v1, v4, vcc
	v_cndmask_b32_e32 v0, v0, v3, vcc
	global_store_dwordx2 v5, v[0:1], s[2:3]
.LBB11_22:
	s_endpgm
	.section	.rodata,"a",@progbits
	.p2align	6, 0x0
	.amdhsa_kernel _ZN7rocprim17ROCPRIM_304000_NS6detail31onesweep_scan_histograms_kernelINS1_34wrapped_radix_sort_onesweep_configINS0_14default_configEiN2at4cuda3cub6detail10OpaqueTypeILi2EEEEEmEEvPT0_
		.amdhsa_group_segment_fixed_size 32
		.amdhsa_private_segment_fixed_size 0
		.amdhsa_kernarg_size 8
		.amdhsa_user_sgpr_count 6
		.amdhsa_user_sgpr_private_segment_buffer 1
		.amdhsa_user_sgpr_dispatch_ptr 0
		.amdhsa_user_sgpr_queue_ptr 0
		.amdhsa_user_sgpr_kernarg_segment_ptr 1
		.amdhsa_user_sgpr_dispatch_id 0
		.amdhsa_user_sgpr_flat_scratch_init 0
		.amdhsa_user_sgpr_private_segment_size 0
		.amdhsa_uses_dynamic_stack 0
		.amdhsa_system_sgpr_private_segment_wavefront_offset 0
		.amdhsa_system_sgpr_workgroup_id_x 1
		.amdhsa_system_sgpr_workgroup_id_y 0
		.amdhsa_system_sgpr_workgroup_id_z 0
		.amdhsa_system_sgpr_workgroup_info 0
		.amdhsa_system_vgpr_workitem_id 0
		.amdhsa_next_free_vgpr 12
		.amdhsa_next_free_sgpr 8
		.amdhsa_reserve_vcc 1
		.amdhsa_reserve_flat_scratch 0
		.amdhsa_float_round_mode_32 0
		.amdhsa_float_round_mode_16_64 0
		.amdhsa_float_denorm_mode_32 3
		.amdhsa_float_denorm_mode_16_64 3
		.amdhsa_dx10_clamp 1
		.amdhsa_ieee_mode 1
		.amdhsa_fp16_overflow 0
		.amdhsa_exception_fp_ieee_invalid_op 0
		.amdhsa_exception_fp_denorm_src 0
		.amdhsa_exception_fp_ieee_div_zero 0
		.amdhsa_exception_fp_ieee_overflow 0
		.amdhsa_exception_fp_ieee_underflow 0
		.amdhsa_exception_fp_ieee_inexact 0
		.amdhsa_exception_int_div_zero 0
	.end_amdhsa_kernel
	.section	.text._ZN7rocprim17ROCPRIM_304000_NS6detail31onesweep_scan_histograms_kernelINS1_34wrapped_radix_sort_onesweep_configINS0_14default_configEiN2at4cuda3cub6detail10OpaqueTypeILi2EEEEEmEEvPT0_,"axG",@progbits,_ZN7rocprim17ROCPRIM_304000_NS6detail31onesweep_scan_histograms_kernelINS1_34wrapped_radix_sort_onesweep_configINS0_14default_configEiN2at4cuda3cub6detail10OpaqueTypeILi2EEEEEmEEvPT0_,comdat
.Lfunc_end11:
	.size	_ZN7rocprim17ROCPRIM_304000_NS6detail31onesweep_scan_histograms_kernelINS1_34wrapped_radix_sort_onesweep_configINS0_14default_configEiN2at4cuda3cub6detail10OpaqueTypeILi2EEEEEmEEvPT0_, .Lfunc_end11-_ZN7rocprim17ROCPRIM_304000_NS6detail31onesweep_scan_histograms_kernelINS1_34wrapped_radix_sort_onesweep_configINS0_14default_configEiN2at4cuda3cub6detail10OpaqueTypeILi2EEEEEmEEvPT0_
                                        ; -- End function
	.set _ZN7rocprim17ROCPRIM_304000_NS6detail31onesweep_scan_histograms_kernelINS1_34wrapped_radix_sort_onesweep_configINS0_14default_configEiN2at4cuda3cub6detail10OpaqueTypeILi2EEEEEmEEvPT0_.num_vgpr, 12
	.set _ZN7rocprim17ROCPRIM_304000_NS6detail31onesweep_scan_histograms_kernelINS1_34wrapped_radix_sort_onesweep_configINS0_14default_configEiN2at4cuda3cub6detail10OpaqueTypeILi2EEEEEmEEvPT0_.num_agpr, 0
	.set _ZN7rocprim17ROCPRIM_304000_NS6detail31onesweep_scan_histograms_kernelINS1_34wrapped_radix_sort_onesweep_configINS0_14default_configEiN2at4cuda3cub6detail10OpaqueTypeILi2EEEEEmEEvPT0_.numbered_sgpr, 8
	.set _ZN7rocprim17ROCPRIM_304000_NS6detail31onesweep_scan_histograms_kernelINS1_34wrapped_radix_sort_onesweep_configINS0_14default_configEiN2at4cuda3cub6detail10OpaqueTypeILi2EEEEEmEEvPT0_.num_named_barrier, 0
	.set _ZN7rocprim17ROCPRIM_304000_NS6detail31onesweep_scan_histograms_kernelINS1_34wrapped_radix_sort_onesweep_configINS0_14default_configEiN2at4cuda3cub6detail10OpaqueTypeILi2EEEEEmEEvPT0_.private_seg_size, 0
	.set _ZN7rocprim17ROCPRIM_304000_NS6detail31onesweep_scan_histograms_kernelINS1_34wrapped_radix_sort_onesweep_configINS0_14default_configEiN2at4cuda3cub6detail10OpaqueTypeILi2EEEEEmEEvPT0_.uses_vcc, 1
	.set _ZN7rocprim17ROCPRIM_304000_NS6detail31onesweep_scan_histograms_kernelINS1_34wrapped_radix_sort_onesweep_configINS0_14default_configEiN2at4cuda3cub6detail10OpaqueTypeILi2EEEEEmEEvPT0_.uses_flat_scratch, 0
	.set _ZN7rocprim17ROCPRIM_304000_NS6detail31onesweep_scan_histograms_kernelINS1_34wrapped_radix_sort_onesweep_configINS0_14default_configEiN2at4cuda3cub6detail10OpaqueTypeILi2EEEEEmEEvPT0_.has_dyn_sized_stack, 0
	.set _ZN7rocprim17ROCPRIM_304000_NS6detail31onesweep_scan_histograms_kernelINS1_34wrapped_radix_sort_onesweep_configINS0_14default_configEiN2at4cuda3cub6detail10OpaqueTypeILi2EEEEEmEEvPT0_.has_recursion, 0
	.set _ZN7rocprim17ROCPRIM_304000_NS6detail31onesweep_scan_histograms_kernelINS1_34wrapped_radix_sort_onesweep_configINS0_14default_configEiN2at4cuda3cub6detail10OpaqueTypeILi2EEEEEmEEvPT0_.has_indirect_call, 0
	.section	.AMDGPU.csdata,"",@progbits
; Kernel info:
; codeLenInByte = 848
; TotalNumSgprs: 12
; NumVgprs: 12
; ScratchSize: 0
; MemoryBound: 0
; FloatMode: 240
; IeeeMode: 1
; LDSByteSize: 32 bytes/workgroup (compile time only)
; SGPRBlocks: 1
; VGPRBlocks: 2
; NumSGPRsForWavesPerEU: 12
; NumVGPRsForWavesPerEU: 12
; Occupancy: 10
; WaveLimiterHint : 0
; COMPUTE_PGM_RSRC2:SCRATCH_EN: 0
; COMPUTE_PGM_RSRC2:USER_SGPR: 6
; COMPUTE_PGM_RSRC2:TRAP_HANDLER: 0
; COMPUTE_PGM_RSRC2:TGID_X_EN: 1
; COMPUTE_PGM_RSRC2:TGID_Y_EN: 0
; COMPUTE_PGM_RSRC2:TGID_Z_EN: 0
; COMPUTE_PGM_RSRC2:TIDIG_COMP_CNT: 0
	.section	.text._ZN7rocprim17ROCPRIM_304000_NS6detail16transform_kernelINS1_24wrapped_transform_configINS0_14default_configEiEEiPKiPiNS0_8identityIiEEEEvT1_mT2_T3_,"axG",@progbits,_ZN7rocprim17ROCPRIM_304000_NS6detail16transform_kernelINS1_24wrapped_transform_configINS0_14default_configEiEEiPKiPiNS0_8identityIiEEEEvT1_mT2_T3_,comdat
	.protected	_ZN7rocprim17ROCPRIM_304000_NS6detail16transform_kernelINS1_24wrapped_transform_configINS0_14default_configEiEEiPKiPiNS0_8identityIiEEEEvT1_mT2_T3_ ; -- Begin function _ZN7rocprim17ROCPRIM_304000_NS6detail16transform_kernelINS1_24wrapped_transform_configINS0_14default_configEiEEiPKiPiNS0_8identityIiEEEEvT1_mT2_T3_
	.globl	_ZN7rocprim17ROCPRIM_304000_NS6detail16transform_kernelINS1_24wrapped_transform_configINS0_14default_configEiEEiPKiPiNS0_8identityIiEEEEvT1_mT2_T3_
	.p2align	8
	.type	_ZN7rocprim17ROCPRIM_304000_NS6detail16transform_kernelINS1_24wrapped_transform_configINS0_14default_configEiEEiPKiPiNS0_8identityIiEEEEvT1_mT2_T3_,@function
_ZN7rocprim17ROCPRIM_304000_NS6detail16transform_kernelINS1_24wrapped_transform_configINS0_14default_configEiEEiPKiPiNS0_8identityIiEEEEvT1_mT2_T3_: ; @_ZN7rocprim17ROCPRIM_304000_NS6detail16transform_kernelINS1_24wrapped_transform_configINS0_14default_configEiEEiPKiPiNS0_8identityIiEEEEvT1_mT2_T3_
; %bb.0:
	s_load_dword s7, s[4:5], 0x20
	s_load_dwordx4 s[0:3], s[4:5], 0x0
	s_load_dwordx2 s[8:9], s[4:5], 0x10
	s_lshl_b32 s10, s6, 11
	s_mov_b32 s11, 0
	s_waitcnt lgkmcnt(0)
	s_add_i32 s7, s7, -1
	s_lshl_b64 s[4:5], s[10:11], 2
	s_add_u32 s0, s0, s4
	s_addc_u32 s1, s1, s5
	v_lshlrev_b32_e32 v5, 2, v0
	v_mov_b32_e32 v2, s1
	v_add_co_u32_e32 v1, vcc, s0, v5
	s_cmp_lg_u32 s6, s7
	v_addc_co_u32_e32 v2, vcc, 0, v2, vcc
	s_cbranch_scc0 .LBB12_2
; %bb.1:
	v_add_co_u32_e32 v3, vcc, 0x1000, v1
	global_load_dword v6, v[1:2], off
	v_addc_co_u32_e32 v4, vcc, 0, v2, vcc
	global_load_dword v3, v[3:4], off
	s_add_u32 s0, s8, s4
	s_addc_u32 s1, s9, s5
	s_mov_b64 s[6:7], -1
	s_waitcnt vmcnt(1)
	global_store_dword v5, v6, s[0:1]
	s_cbranch_execz .LBB12_3
	s_branch .LBB12_10
.LBB12_2:
	s_mov_b64 s[6:7], 0
                                        ; implicit-def: $vgpr3
.LBB12_3:
	s_sub_i32 s10, s2, s10
	s_waitcnt vmcnt(1)
	v_mov_b32_e32 v3, 0
	v_cmp_gt_u32_e64 s[0:1], s10, v0
	v_mov_b32_e32 v4, v3
	s_and_saveexec_b64 s[2:3], s[0:1]
	s_cbranch_execz .LBB12_5
; %bb.4:
	global_load_dword v6, v[1:2], off
	v_mov_b32_e32 v7, v3
	s_waitcnt vmcnt(0)
	v_mov_b32_e32 v3, v6
	v_mov_b32_e32 v4, v7
.LBB12_5:
	s_or_b64 exec, exec, s[2:3]
	v_or_b32_e32 v0, 0x400, v0
	v_cmp_gt_u32_e64 s[2:3], s10, v0
	s_and_saveexec_b64 s[10:11], s[2:3]
	s_cbranch_execnz .LBB12_13
; %bb.6:
	s_or_b64 exec, exec, s[10:11]
	v_cndmask_b32_e64 v0, 0, v3, s[0:1]
	s_and_saveexec_b64 s[10:11], s[0:1]
	s_cbranch_execnz .LBB12_14
.LBB12_7:
	s_or_b64 exec, exec, s[10:11]
                                        ; implicit-def: $vgpr3
	s_and_saveexec_b64 s[0:1], s[2:3]
	s_cbranch_execz .LBB12_9
.LBB12_8:
	s_waitcnt vmcnt(0)
	v_cndmask_b32_e64 v3, 0, v4, s[2:3]
	s_or_b64 s[6:7], s[6:7], exec
.LBB12_9:
	s_or_b64 exec, exec, s[0:1]
.LBB12_10:
	s_and_saveexec_b64 s[0:1], s[6:7]
	s_cbranch_execnz .LBB12_12
; %bb.11:
	s_endpgm
.LBB12_12:
	s_add_u32 s0, s8, s4
	s_addc_u32 s1, s9, s5
	v_mov_b32_e32 v0, s1
	v_add_co_u32_e32 v1, vcc, s0, v5
	v_addc_co_u32_e32 v2, vcc, 0, v0, vcc
	v_add_co_u32_e32 v0, vcc, 0x1000, v1
	v_addc_co_u32_e32 v1, vcc, 0, v2, vcc
	s_waitcnt vmcnt(1)
	global_store_dword v[0:1], v3, off
	s_endpgm
.LBB12_13:
	v_add_co_u32_e32 v0, vcc, 0x1000, v1
	v_addc_co_u32_e32 v1, vcc, 0, v2, vcc
	global_load_dword v4, v[0:1], off
	s_or_b64 exec, exec, s[10:11]
	v_cndmask_b32_e64 v0, 0, v3, s[0:1]
	s_and_saveexec_b64 s[10:11], s[0:1]
	s_cbranch_execz .LBB12_7
.LBB12_14:
	s_add_u32 s0, s8, s4
	s_addc_u32 s1, s9, s5
	global_store_dword v5, v0, s[0:1]
	s_or_b64 exec, exec, s[10:11]
                                        ; implicit-def: $vgpr3
	s_and_saveexec_b64 s[0:1], s[2:3]
	s_cbranch_execnz .LBB12_8
	s_branch .LBB12_9
	.section	.rodata,"a",@progbits
	.p2align	6, 0x0
	.amdhsa_kernel _ZN7rocprim17ROCPRIM_304000_NS6detail16transform_kernelINS1_24wrapped_transform_configINS0_14default_configEiEEiPKiPiNS0_8identityIiEEEEvT1_mT2_T3_
		.amdhsa_group_segment_fixed_size 0
		.amdhsa_private_segment_fixed_size 0
		.amdhsa_kernarg_size 288
		.amdhsa_user_sgpr_count 6
		.amdhsa_user_sgpr_private_segment_buffer 1
		.amdhsa_user_sgpr_dispatch_ptr 0
		.amdhsa_user_sgpr_queue_ptr 0
		.amdhsa_user_sgpr_kernarg_segment_ptr 1
		.amdhsa_user_sgpr_dispatch_id 0
		.amdhsa_user_sgpr_flat_scratch_init 0
		.amdhsa_user_sgpr_private_segment_size 0
		.amdhsa_uses_dynamic_stack 0
		.amdhsa_system_sgpr_private_segment_wavefront_offset 0
		.amdhsa_system_sgpr_workgroup_id_x 1
		.amdhsa_system_sgpr_workgroup_id_y 0
		.amdhsa_system_sgpr_workgroup_id_z 0
		.amdhsa_system_sgpr_workgroup_info 0
		.amdhsa_system_vgpr_workitem_id 0
		.amdhsa_next_free_vgpr 8
		.amdhsa_next_free_sgpr 12
		.amdhsa_reserve_vcc 1
		.amdhsa_reserve_flat_scratch 0
		.amdhsa_float_round_mode_32 0
		.amdhsa_float_round_mode_16_64 0
		.amdhsa_float_denorm_mode_32 3
		.amdhsa_float_denorm_mode_16_64 3
		.amdhsa_dx10_clamp 1
		.amdhsa_ieee_mode 1
		.amdhsa_fp16_overflow 0
		.amdhsa_exception_fp_ieee_invalid_op 0
		.amdhsa_exception_fp_denorm_src 0
		.amdhsa_exception_fp_ieee_div_zero 0
		.amdhsa_exception_fp_ieee_overflow 0
		.amdhsa_exception_fp_ieee_underflow 0
		.amdhsa_exception_fp_ieee_inexact 0
		.amdhsa_exception_int_div_zero 0
	.end_amdhsa_kernel
	.section	.text._ZN7rocprim17ROCPRIM_304000_NS6detail16transform_kernelINS1_24wrapped_transform_configINS0_14default_configEiEEiPKiPiNS0_8identityIiEEEEvT1_mT2_T3_,"axG",@progbits,_ZN7rocprim17ROCPRIM_304000_NS6detail16transform_kernelINS1_24wrapped_transform_configINS0_14default_configEiEEiPKiPiNS0_8identityIiEEEEvT1_mT2_T3_,comdat
.Lfunc_end12:
	.size	_ZN7rocprim17ROCPRIM_304000_NS6detail16transform_kernelINS1_24wrapped_transform_configINS0_14default_configEiEEiPKiPiNS0_8identityIiEEEEvT1_mT2_T3_, .Lfunc_end12-_ZN7rocprim17ROCPRIM_304000_NS6detail16transform_kernelINS1_24wrapped_transform_configINS0_14default_configEiEEiPKiPiNS0_8identityIiEEEEvT1_mT2_T3_
                                        ; -- End function
	.set _ZN7rocprim17ROCPRIM_304000_NS6detail16transform_kernelINS1_24wrapped_transform_configINS0_14default_configEiEEiPKiPiNS0_8identityIiEEEEvT1_mT2_T3_.num_vgpr, 8
	.set _ZN7rocprim17ROCPRIM_304000_NS6detail16transform_kernelINS1_24wrapped_transform_configINS0_14default_configEiEEiPKiPiNS0_8identityIiEEEEvT1_mT2_T3_.num_agpr, 0
	.set _ZN7rocprim17ROCPRIM_304000_NS6detail16transform_kernelINS1_24wrapped_transform_configINS0_14default_configEiEEiPKiPiNS0_8identityIiEEEEvT1_mT2_T3_.numbered_sgpr, 12
	.set _ZN7rocprim17ROCPRIM_304000_NS6detail16transform_kernelINS1_24wrapped_transform_configINS0_14default_configEiEEiPKiPiNS0_8identityIiEEEEvT1_mT2_T3_.num_named_barrier, 0
	.set _ZN7rocprim17ROCPRIM_304000_NS6detail16transform_kernelINS1_24wrapped_transform_configINS0_14default_configEiEEiPKiPiNS0_8identityIiEEEEvT1_mT2_T3_.private_seg_size, 0
	.set _ZN7rocprim17ROCPRIM_304000_NS6detail16transform_kernelINS1_24wrapped_transform_configINS0_14default_configEiEEiPKiPiNS0_8identityIiEEEEvT1_mT2_T3_.uses_vcc, 1
	.set _ZN7rocprim17ROCPRIM_304000_NS6detail16transform_kernelINS1_24wrapped_transform_configINS0_14default_configEiEEiPKiPiNS0_8identityIiEEEEvT1_mT2_T3_.uses_flat_scratch, 0
	.set _ZN7rocprim17ROCPRIM_304000_NS6detail16transform_kernelINS1_24wrapped_transform_configINS0_14default_configEiEEiPKiPiNS0_8identityIiEEEEvT1_mT2_T3_.has_dyn_sized_stack, 0
	.set _ZN7rocprim17ROCPRIM_304000_NS6detail16transform_kernelINS1_24wrapped_transform_configINS0_14default_configEiEEiPKiPiNS0_8identityIiEEEEvT1_mT2_T3_.has_recursion, 0
	.set _ZN7rocprim17ROCPRIM_304000_NS6detail16transform_kernelINS1_24wrapped_transform_configINS0_14default_configEiEEiPKiPiNS0_8identityIiEEEEvT1_mT2_T3_.has_indirect_call, 0
	.section	.AMDGPU.csdata,"",@progbits
; Kernel info:
; codeLenInByte = 408
; TotalNumSgprs: 16
; NumVgprs: 8
; ScratchSize: 0
; MemoryBound: 0
; FloatMode: 240
; IeeeMode: 1
; LDSByteSize: 0 bytes/workgroup (compile time only)
; SGPRBlocks: 1
; VGPRBlocks: 1
; NumSGPRsForWavesPerEU: 16
; NumVGPRsForWavesPerEU: 8
; Occupancy: 10
; WaveLimiterHint : 1
; COMPUTE_PGM_RSRC2:SCRATCH_EN: 0
; COMPUTE_PGM_RSRC2:USER_SGPR: 6
; COMPUTE_PGM_RSRC2:TRAP_HANDLER: 0
; COMPUTE_PGM_RSRC2:TGID_X_EN: 1
; COMPUTE_PGM_RSRC2:TGID_Y_EN: 0
; COMPUTE_PGM_RSRC2:TGID_Z_EN: 0
; COMPUTE_PGM_RSRC2:TIDIG_COMP_CNT: 0
	.section	.text._ZN7rocprim17ROCPRIM_304000_NS6detail16transform_kernelINS1_24wrapped_transform_configINS0_14default_configEN2at4cuda3cub6detail10OpaqueTypeILi2EEEEESA_PKSA_PSA_NS0_8identityISA_EEEEvT1_mT2_T3_,"axG",@progbits,_ZN7rocprim17ROCPRIM_304000_NS6detail16transform_kernelINS1_24wrapped_transform_configINS0_14default_configEN2at4cuda3cub6detail10OpaqueTypeILi2EEEEESA_PKSA_PSA_NS0_8identityISA_EEEEvT1_mT2_T3_,comdat
	.protected	_ZN7rocprim17ROCPRIM_304000_NS6detail16transform_kernelINS1_24wrapped_transform_configINS0_14default_configEN2at4cuda3cub6detail10OpaqueTypeILi2EEEEESA_PKSA_PSA_NS0_8identityISA_EEEEvT1_mT2_T3_ ; -- Begin function _ZN7rocprim17ROCPRIM_304000_NS6detail16transform_kernelINS1_24wrapped_transform_configINS0_14default_configEN2at4cuda3cub6detail10OpaqueTypeILi2EEEEESA_PKSA_PSA_NS0_8identityISA_EEEEvT1_mT2_T3_
	.globl	_ZN7rocprim17ROCPRIM_304000_NS6detail16transform_kernelINS1_24wrapped_transform_configINS0_14default_configEN2at4cuda3cub6detail10OpaqueTypeILi2EEEEESA_PKSA_PSA_NS0_8identityISA_EEEEvT1_mT2_T3_
	.p2align	8
	.type	_ZN7rocprim17ROCPRIM_304000_NS6detail16transform_kernelINS1_24wrapped_transform_configINS0_14default_configEN2at4cuda3cub6detail10OpaqueTypeILi2EEEEESA_PKSA_PSA_NS0_8identityISA_EEEEvT1_mT2_T3_,@function
_ZN7rocprim17ROCPRIM_304000_NS6detail16transform_kernelINS1_24wrapped_transform_configINS0_14default_configEN2at4cuda3cub6detail10OpaqueTypeILi2EEEEESA_PKSA_PSA_NS0_8identityISA_EEEEvT1_mT2_T3_: ; @_ZN7rocprim17ROCPRIM_304000_NS6detail16transform_kernelINS1_24wrapped_transform_configINS0_14default_configEN2at4cuda3cub6detail10OpaqueTypeILi2EEEEESA_PKSA_PSA_NS0_8identityISA_EEEEvT1_mT2_T3_
; %bb.0:
	s_load_dword s7, s[4:5], 0x20
	s_load_dwordx4 s[0:3], s[4:5], 0x0
	s_load_dwordx2 s[8:9], s[4:5], 0x10
	s_lshl_b32 s4, s6, 11
	s_mov_b32 s5, 0
	s_waitcnt lgkmcnt(0)
	s_add_i32 s7, s7, -1
	s_lshl_b64 s[10:11], s[4:5], 1
	s_add_u32 s0, s0, s10
	s_addc_u32 s1, s1, s11
	v_lshlrev_b32_e32 v3, 1, v0
	v_mov_b32_e32 v2, s1
	v_add_co_u32_e32 v1, vcc, s0, v3
	s_cmp_lg_u32 s6, s7
	v_addc_co_u32_e32 v2, vcc, 0, v2, vcc
	s_cbranch_scc0 .LBB13_2
; %bb.1:
	global_load_ushort v5, v[1:2], off
	global_load_ushort v6, v[1:2], off offset:1024
	global_load_ushort v7, v[1:2], off offset:2048
	;; [unrolled: 1-line block ×3, first 2 shown]
	s_add_u32 s6, s8, s10
	s_addc_u32 s7, s9, s11
	s_waitcnt vmcnt(3)
	global_store_short v3, v5, s[6:7]
	s_waitcnt vmcnt(3)
	global_store_short v3, v6, s[6:7] offset:1024
	s_waitcnt vmcnt(3)
	global_store_short v3, v7, s[6:7] offset:2048
	s_mov_b64 s[6:7], -1
	s_cbranch_execz .LBB13_3
	s_branch .LBB13_16
.LBB13_2:
	s_mov_b64 s[6:7], 0
                                        ; implicit-def: $vgpr4
.LBB13_3:
	s_sub_i32 s6, s2, s4
	v_cmp_gt_u32_e32 vcc, s6, v0
                                        ; implicit-def: $vgpr5
	s_and_saveexec_b64 s[0:1], vcc
	s_cbranch_execz .LBB13_5
; %bb.4:
	global_load_ushort v5, v[1:2], off
.LBB13_5:
	s_or_b64 exec, exec, s[0:1]
	s_waitcnt vmcnt(3)
	v_or_b32_e32 v4, 0x200, v0
	v_cmp_gt_u32_e64 s[0:1], s6, v4
                                        ; implicit-def: $vgpr6
	s_and_saveexec_b64 s[2:3], s[0:1]
	s_cbranch_execz .LBB13_7
; %bb.6:
	global_load_ushort v6, v[1:2], off offset:1024
.LBB13_7:
	s_or_b64 exec, exec, s[2:3]
	v_or_b32_e32 v4, 0x400, v0
	v_cmp_gt_u32_e64 s[2:3], s6, v4
                                        ; implicit-def: $vgpr7
	s_and_saveexec_b64 s[4:5], s[2:3]
	s_cbranch_execz .LBB13_9
; %bb.8:
	global_load_ushort v7, v[1:2], off offset:2048
.LBB13_9:
	s_or_b64 exec, exec, s[4:5]
	v_or_b32_e32 v0, 0x600, v0
	v_cmp_gt_u32_e64 s[6:7], s6, v0
                                        ; implicit-def: $vgpr4
	s_and_saveexec_b64 s[4:5], s[6:7]
	s_cbranch_execz .LBB13_11
; %bb.10:
	global_load_ushort v4, v[1:2], off offset:3072
.LBB13_11:
	s_or_b64 exec, exec, s[4:5]
	s_add_u32 s4, s8, s10
	s_addc_u32 s5, s9, s11
	v_mov_b32_e32 v1, s5
	v_add_co_u32_e64 v0, s[4:5], s4, v3
	v_addc_co_u32_e64 v1, s[4:5], 0, v1, s[4:5]
	s_and_saveexec_b64 s[4:5], vcc
	s_cbranch_execnz .LBB13_19
; %bb.12:
	s_or_b64 exec, exec, s[4:5]
	s_and_saveexec_b64 s[4:5], s[0:1]
	s_cbranch_execnz .LBB13_20
.LBB13_13:
	s_or_b64 exec, exec, s[4:5]
	s_and_saveexec_b64 s[0:1], s[2:3]
	s_cbranch_execz .LBB13_15
.LBB13_14:
	s_waitcnt vmcnt(0)
	global_store_short v[0:1], v7, off offset:2048
.LBB13_15:
	s_or_b64 exec, exec, s[0:1]
.LBB13_16:
	s_and_saveexec_b64 s[0:1], s[6:7]
	s_cbranch_execnz .LBB13_18
; %bb.17:
	s_endpgm
.LBB13_18:
	s_add_u32 s0, s8, s10
	s_addc_u32 s1, s9, s11
	s_waitcnt vmcnt(0)
	global_store_short v3, v4, s[0:1] offset:3072
	s_endpgm
.LBB13_19:
	s_waitcnt vmcnt(0)
	global_store_short v[0:1], v5, off
	s_or_b64 exec, exec, s[4:5]
	s_and_saveexec_b64 s[4:5], s[0:1]
	s_cbranch_execz .LBB13_13
.LBB13_20:
	s_waitcnt vmcnt(0)
	global_store_short v[0:1], v6, off offset:1024
	s_or_b64 exec, exec, s[4:5]
	s_and_saveexec_b64 s[0:1], s[2:3]
	s_cbranch_execnz .LBB13_14
	s_branch .LBB13_15
	.section	.rodata,"a",@progbits
	.p2align	6, 0x0
	.amdhsa_kernel _ZN7rocprim17ROCPRIM_304000_NS6detail16transform_kernelINS1_24wrapped_transform_configINS0_14default_configEN2at4cuda3cub6detail10OpaqueTypeILi2EEEEESA_PKSA_PSA_NS0_8identityISA_EEEEvT1_mT2_T3_
		.amdhsa_group_segment_fixed_size 0
		.amdhsa_private_segment_fixed_size 0
		.amdhsa_kernarg_size 288
		.amdhsa_user_sgpr_count 6
		.amdhsa_user_sgpr_private_segment_buffer 1
		.amdhsa_user_sgpr_dispatch_ptr 0
		.amdhsa_user_sgpr_queue_ptr 0
		.amdhsa_user_sgpr_kernarg_segment_ptr 1
		.amdhsa_user_sgpr_dispatch_id 0
		.amdhsa_user_sgpr_flat_scratch_init 0
		.amdhsa_user_sgpr_private_segment_size 0
		.amdhsa_uses_dynamic_stack 0
		.amdhsa_system_sgpr_private_segment_wavefront_offset 0
		.amdhsa_system_sgpr_workgroup_id_x 1
		.amdhsa_system_sgpr_workgroup_id_y 0
		.amdhsa_system_sgpr_workgroup_id_z 0
		.amdhsa_system_sgpr_workgroup_info 0
		.amdhsa_system_vgpr_workitem_id 0
		.amdhsa_next_free_vgpr 8
		.amdhsa_next_free_sgpr 12
		.amdhsa_reserve_vcc 1
		.amdhsa_reserve_flat_scratch 0
		.amdhsa_float_round_mode_32 0
		.amdhsa_float_round_mode_16_64 0
		.amdhsa_float_denorm_mode_32 3
		.amdhsa_float_denorm_mode_16_64 3
		.amdhsa_dx10_clamp 1
		.amdhsa_ieee_mode 1
		.amdhsa_fp16_overflow 0
		.amdhsa_exception_fp_ieee_invalid_op 0
		.amdhsa_exception_fp_denorm_src 0
		.amdhsa_exception_fp_ieee_div_zero 0
		.amdhsa_exception_fp_ieee_overflow 0
		.amdhsa_exception_fp_ieee_underflow 0
		.amdhsa_exception_fp_ieee_inexact 0
		.amdhsa_exception_int_div_zero 0
	.end_amdhsa_kernel
	.section	.text._ZN7rocprim17ROCPRIM_304000_NS6detail16transform_kernelINS1_24wrapped_transform_configINS0_14default_configEN2at4cuda3cub6detail10OpaqueTypeILi2EEEEESA_PKSA_PSA_NS0_8identityISA_EEEEvT1_mT2_T3_,"axG",@progbits,_ZN7rocprim17ROCPRIM_304000_NS6detail16transform_kernelINS1_24wrapped_transform_configINS0_14default_configEN2at4cuda3cub6detail10OpaqueTypeILi2EEEEESA_PKSA_PSA_NS0_8identityISA_EEEEvT1_mT2_T3_,comdat
.Lfunc_end13:
	.size	_ZN7rocprim17ROCPRIM_304000_NS6detail16transform_kernelINS1_24wrapped_transform_configINS0_14default_configEN2at4cuda3cub6detail10OpaqueTypeILi2EEEEESA_PKSA_PSA_NS0_8identityISA_EEEEvT1_mT2_T3_, .Lfunc_end13-_ZN7rocprim17ROCPRIM_304000_NS6detail16transform_kernelINS1_24wrapped_transform_configINS0_14default_configEN2at4cuda3cub6detail10OpaqueTypeILi2EEEEESA_PKSA_PSA_NS0_8identityISA_EEEEvT1_mT2_T3_
                                        ; -- End function
	.set _ZN7rocprim17ROCPRIM_304000_NS6detail16transform_kernelINS1_24wrapped_transform_configINS0_14default_configEN2at4cuda3cub6detail10OpaqueTypeILi2EEEEESA_PKSA_PSA_NS0_8identityISA_EEEEvT1_mT2_T3_.num_vgpr, 8
	.set _ZN7rocprim17ROCPRIM_304000_NS6detail16transform_kernelINS1_24wrapped_transform_configINS0_14default_configEN2at4cuda3cub6detail10OpaqueTypeILi2EEEEESA_PKSA_PSA_NS0_8identityISA_EEEEvT1_mT2_T3_.num_agpr, 0
	.set _ZN7rocprim17ROCPRIM_304000_NS6detail16transform_kernelINS1_24wrapped_transform_configINS0_14default_configEN2at4cuda3cub6detail10OpaqueTypeILi2EEEEESA_PKSA_PSA_NS0_8identityISA_EEEEvT1_mT2_T3_.numbered_sgpr, 12
	.set _ZN7rocprim17ROCPRIM_304000_NS6detail16transform_kernelINS1_24wrapped_transform_configINS0_14default_configEN2at4cuda3cub6detail10OpaqueTypeILi2EEEEESA_PKSA_PSA_NS0_8identityISA_EEEEvT1_mT2_T3_.num_named_barrier, 0
	.set _ZN7rocprim17ROCPRIM_304000_NS6detail16transform_kernelINS1_24wrapped_transform_configINS0_14default_configEN2at4cuda3cub6detail10OpaqueTypeILi2EEEEESA_PKSA_PSA_NS0_8identityISA_EEEEvT1_mT2_T3_.private_seg_size, 0
	.set _ZN7rocprim17ROCPRIM_304000_NS6detail16transform_kernelINS1_24wrapped_transform_configINS0_14default_configEN2at4cuda3cub6detail10OpaqueTypeILi2EEEEESA_PKSA_PSA_NS0_8identityISA_EEEEvT1_mT2_T3_.uses_vcc, 1
	.set _ZN7rocprim17ROCPRIM_304000_NS6detail16transform_kernelINS1_24wrapped_transform_configINS0_14default_configEN2at4cuda3cub6detail10OpaqueTypeILi2EEEEESA_PKSA_PSA_NS0_8identityISA_EEEEvT1_mT2_T3_.uses_flat_scratch, 0
	.set _ZN7rocprim17ROCPRIM_304000_NS6detail16transform_kernelINS1_24wrapped_transform_configINS0_14default_configEN2at4cuda3cub6detail10OpaqueTypeILi2EEEEESA_PKSA_PSA_NS0_8identityISA_EEEEvT1_mT2_T3_.has_dyn_sized_stack, 0
	.set _ZN7rocprim17ROCPRIM_304000_NS6detail16transform_kernelINS1_24wrapped_transform_configINS0_14default_configEN2at4cuda3cub6detail10OpaqueTypeILi2EEEEESA_PKSA_PSA_NS0_8identityISA_EEEEvT1_mT2_T3_.has_recursion, 0
	.set _ZN7rocprim17ROCPRIM_304000_NS6detail16transform_kernelINS1_24wrapped_transform_configINS0_14default_configEN2at4cuda3cub6detail10OpaqueTypeILi2EEEEESA_PKSA_PSA_NS0_8identityISA_EEEEvT1_mT2_T3_.has_indirect_call, 0
	.section	.AMDGPU.csdata,"",@progbits
; Kernel info:
; codeLenInByte = 472
; TotalNumSgprs: 16
; NumVgprs: 8
; ScratchSize: 0
; MemoryBound: 0
; FloatMode: 240
; IeeeMode: 1
; LDSByteSize: 0 bytes/workgroup (compile time only)
; SGPRBlocks: 1
; VGPRBlocks: 1
; NumSGPRsForWavesPerEU: 16
; NumVGPRsForWavesPerEU: 8
; Occupancy: 10
; WaveLimiterHint : 1
; COMPUTE_PGM_RSRC2:SCRATCH_EN: 0
; COMPUTE_PGM_RSRC2:USER_SGPR: 6
; COMPUTE_PGM_RSRC2:TRAP_HANDLER: 0
; COMPUTE_PGM_RSRC2:TGID_X_EN: 1
; COMPUTE_PGM_RSRC2:TGID_Y_EN: 0
; COMPUTE_PGM_RSRC2:TGID_Z_EN: 0
; COMPUTE_PGM_RSRC2:TIDIG_COMP_CNT: 0
	.section	.text._ZN7rocprim17ROCPRIM_304000_NS6detail25onesweep_iteration_kernelINS1_34wrapped_radix_sort_onesweep_configINS0_14default_configEiN2at4cuda3cub6detail10OpaqueTypeILi2EEEEELb1EPKiPiPKSA_PSA_mNS0_19identity_decomposerEEEvT1_T2_T3_T4_jPT5_SO_PNS1_23onesweep_lookback_stateET6_jjj,"axG",@progbits,_ZN7rocprim17ROCPRIM_304000_NS6detail25onesweep_iteration_kernelINS1_34wrapped_radix_sort_onesweep_configINS0_14default_configEiN2at4cuda3cub6detail10OpaqueTypeILi2EEEEELb1EPKiPiPKSA_PSA_mNS0_19identity_decomposerEEEvT1_T2_T3_T4_jPT5_SO_PNS1_23onesweep_lookback_stateET6_jjj,comdat
	.protected	_ZN7rocprim17ROCPRIM_304000_NS6detail25onesweep_iteration_kernelINS1_34wrapped_radix_sort_onesweep_configINS0_14default_configEiN2at4cuda3cub6detail10OpaqueTypeILi2EEEEELb1EPKiPiPKSA_PSA_mNS0_19identity_decomposerEEEvT1_T2_T3_T4_jPT5_SO_PNS1_23onesweep_lookback_stateET6_jjj ; -- Begin function _ZN7rocprim17ROCPRIM_304000_NS6detail25onesweep_iteration_kernelINS1_34wrapped_radix_sort_onesweep_configINS0_14default_configEiN2at4cuda3cub6detail10OpaqueTypeILi2EEEEELb1EPKiPiPKSA_PSA_mNS0_19identity_decomposerEEEvT1_T2_T3_T4_jPT5_SO_PNS1_23onesweep_lookback_stateET6_jjj
	.globl	_ZN7rocprim17ROCPRIM_304000_NS6detail25onesweep_iteration_kernelINS1_34wrapped_radix_sort_onesweep_configINS0_14default_configEiN2at4cuda3cub6detail10OpaqueTypeILi2EEEEELb1EPKiPiPKSA_PSA_mNS0_19identity_decomposerEEEvT1_T2_T3_T4_jPT5_SO_PNS1_23onesweep_lookback_stateET6_jjj
	.p2align	8
	.type	_ZN7rocprim17ROCPRIM_304000_NS6detail25onesweep_iteration_kernelINS1_34wrapped_radix_sort_onesweep_configINS0_14default_configEiN2at4cuda3cub6detail10OpaqueTypeILi2EEEEELb1EPKiPiPKSA_PSA_mNS0_19identity_decomposerEEEvT1_T2_T3_T4_jPT5_SO_PNS1_23onesweep_lookback_stateET6_jjj,@function
_ZN7rocprim17ROCPRIM_304000_NS6detail25onesweep_iteration_kernelINS1_34wrapped_radix_sort_onesweep_configINS0_14default_configEiN2at4cuda3cub6detail10OpaqueTypeILi2EEEEELb1EPKiPiPKSA_PSA_mNS0_19identity_decomposerEEEvT1_T2_T3_T4_jPT5_SO_PNS1_23onesweep_lookback_stateET6_jjj: ; @_ZN7rocprim17ROCPRIM_304000_NS6detail25onesweep_iteration_kernelINS1_34wrapped_radix_sort_onesweep_configINS0_14default_configEiN2at4cuda3cub6detail10OpaqueTypeILi2EEEEELb1EPKiPiPKSA_PSA_mNS0_19identity_decomposerEEEvT1_T2_T3_T4_jPT5_SO_PNS1_23onesweep_lookback_stateET6_jjj
; %bb.0:
	s_load_dwordx8 s[80:87], s[4:5], 0x0
	s_load_dwordx4 s[92:95], s[4:5], 0x44
	s_load_dwordx4 s[0:3], s[4:5], 0x28
                                        ; implicit-def: $vgpr88 : SGPR spill to VGPR lane
	s_load_dwordx2 s[88:89], s[4:5], 0x38
	s_mov_b32 s7, s6
	s_mul_i32 s78, s6, 0x1200
	s_waitcnt lgkmcnt(0)
	s_cmp_ge_u32 s6, s94
	v_writelane_b32 v88, s0, 0
	v_writelane_b32 v88, s1, 1
	;; [unrolled: 1-line block ×4, first 2 shown]
	s_mov_b64 s[0:1], -1
	v_mbcnt_lo_u32_b32 v9, -1, 0
	s_cbranch_scc0 .LBB14_218
; %bb.1:
	s_load_dword s2, s[4:5], 0x20
	s_mul_i32 s90, s94, 0xffffee00
	s_mov_b32 s79, 0
	s_lshl_b64 s[0:1], s[78:79], 2
	v_mbcnt_hi_u32_b32 v11, -1, v9
	s_waitcnt lgkmcnt(0)
	s_add_i32 s90, s90, s2
	s_add_u32 s0, s80, s0
	s_addc_u32 s1, s81, s1
	v_and_b32_e32 v20, 0xc0, v0
	v_lshlrev_b32_e32 v3, 2, v11
	v_mul_u32_u24_e32 v10, 18, v20
	v_mov_b32_e32 v4, s1
	v_add_co_u32_e32 v3, vcc, s0, v3
	v_addc_co_u32_e32 v4, vcc, 0, v4, vcc
	v_lshlrev_b32_e32 v5, 2, v10
	v_add_co_u32_e32 v3, vcc, v3, v5
	v_or_b32_e32 v5, v11, v10
	v_mov_b32_e32 v7, -1
	v_addc_co_u32_e32 v4, vcc, 0, v4, vcc
	v_cmp_gt_u32_e64 s[0:1], s90, v5
	v_mov_b32_e32 v8, -1
	s_and_saveexec_b64 s[2:3], s[0:1]
	s_cbranch_execz .LBB14_3
; %bb.2:
	global_load_dword v6, v[3:4], off
	s_waitcnt vmcnt(0)
	v_xor_b32_e32 v8, 0x7fffffff, v6
.LBB14_3:
	s_or_b64 exec, exec, s[2:3]
	v_add_u32_e32 v6, 64, v5
	v_cmp_gt_u32_e64 s[2:3], s90, v6
	s_and_saveexec_b64 s[8:9], s[2:3]
	s_cbranch_execz .LBB14_5
; %bb.4:
	global_load_dword v6, v[3:4], off offset:256
	s_waitcnt vmcnt(0)
	v_xor_b32_e32 v7, 0x7fffffff, v6
.LBB14_5:
	s_or_b64 exec, exec, s[8:9]
	v_add_u32_e32 v6, 0x80, v5
	v_cmp_gt_u32_e64 s[74:75], s90, v6
	v_mov_b32_e32 v12, -1
	v_mov_b32_e32 v13, -1
	s_and_saveexec_b64 s[8:9], s[74:75]
	s_cbranch_execz .LBB14_7
; %bb.6:
	global_load_dword v6, v[3:4], off offset:512
	s_waitcnt vmcnt(0)
	v_xor_b32_e32 v13, 0x7fffffff, v6
.LBB14_7:
	s_or_b64 exec, exec, s[8:9]
	v_add_u32_e32 v6, 0xc0, v5
	v_cmp_gt_u32_e64 s[8:9], s90, v6
	s_and_saveexec_b64 s[10:11], s[8:9]
	s_cbranch_execz .LBB14_9
; %bb.8:
	global_load_dword v6, v[3:4], off offset:768
	s_waitcnt vmcnt(0)
	v_xor_b32_e32 v12, 0x7fffffff, v6
.LBB14_9:
	s_or_b64 exec, exec, s[10:11]
	v_add_u32_e32 v6, 0x100, v5
	v_cmp_gt_u32_e64 s[10:11], s90, v6
	v_mov_b32_e32 v14, -1
	v_mov_b32_e32 v15, -1
	s_and_saveexec_b64 s[12:13], s[10:11]
	s_cbranch_execz .LBB14_11
; %bb.10:
	global_load_dword v6, v[3:4], off offset:1024
	s_waitcnt vmcnt(0)
	v_xor_b32_e32 v15, 0x7fffffff, v6
.LBB14_11:
	;; [unrolled: 22-line block ×7, first 2 shown]
	s_or_b64 exec, exec, s[34:35]
	v_add_u32_e32 v6, 0x3c0, v5
	v_cmp_gt_u32_e64 s[34:35], s90, v6
	s_and_saveexec_b64 s[36:37], s[34:35]
	s_cbranch_execz .LBB14_33
; %bb.32:
	global_load_dword v6, v[3:4], off offset:3840
	s_waitcnt vmcnt(0)
	v_xor_b32_e32 v25, 0x7fffffff, v6
.LBB14_33:
	s_or_b64 exec, exec, s[36:37]
	v_add_u32_e32 v6, 0x400, v5
	v_cmp_gt_u32_e64 s[36:37], s90, v6
	v_mov_b32_e32 v27, -1
	v_mov_b32_e32 v28, -1
	s_and_saveexec_b64 s[38:39], s[36:37]
	s_cbranch_execz .LBB14_35
; %bb.34:
	v_add_co_u32_e32 v28, vcc, 0x1000, v3
	v_addc_co_u32_e32 v29, vcc, 0, v4, vcc
	global_load_dword v6, v[28:29], off
	s_waitcnt vmcnt(0)
	v_xor_b32_e32 v28, 0x7fffffff, v6
.LBB14_35:
	s_or_b64 exec, exec, s[38:39]
	v_add_u32_e32 v5, 0x440, v5
	v_cmp_gt_u32_e64 s[38:39], s90, v5
	s_and_saveexec_b64 s[40:41], s[38:39]
	s_cbranch_execz .LBB14_37
; %bb.36:
	v_add_co_u32_e32 v3, vcc, 0x1000, v3
	v_addc_co_u32_e32 v4, vcc, 0, v4, vcc
	global_load_dword v3, v[3:4], off offset:256
	s_waitcnt vmcnt(0)
	v_xor_b32_e32 v27, 0x7fffffff, v3
.LBB14_37:
	s_or_b64 exec, exec, s[40:41]
	s_load_dword s40, s[4:5], 0x5c
	s_load_dword s33, s[4:5], 0x50
	s_add_u32 s41, s4, 0x50
	s_addc_u32 s42, s5, 0
	v_mov_b32_e32 v3, 0
	s_waitcnt lgkmcnt(0)
	s_lshr_b32 s43, s40, 16
	s_cmp_lt_u32 s6, s33
	s_cselect_b32 s40, 12, 18
	s_add_u32 s40, s41, s40
	s_addc_u32 s41, s42, 0
	global_load_ushort v5, v3, s[40:41]
	s_lshl_b32 s40, -1, s93
	v_lshrrev_b32_e32 v4, s92, v8
	s_not_b32 s94, s40
	v_and_b32_e32 v30, s94, v4
	v_and_b32_e32 v31, 1, v30
	v_add_co_u32_e32 v33, vcc, -1, v31
	v_lshlrev_b32_e32 v4, 30, v30
	v_addc_co_u32_e64 v34, s[40:41], 0, -1, vcc
	v_cmp_ne_u32_e32 vcc, 0, v31
	v_cmp_gt_i64_e64 s[40:41], 0, v[3:4]
	v_not_b32_e32 v31, v4
	v_lshlrev_b32_e32 v4, 29, v30
	v_xor_b32_e32 v34, vcc_hi, v34
	v_xor_b32_e32 v33, vcc_lo, v33
	v_ashrrev_i32_e32 v31, 31, v31
	v_cmp_gt_i64_e32 vcc, 0, v[3:4]
	v_not_b32_e32 v35, v4
	v_lshlrev_b32_e32 v4, 28, v30
	v_and_b32_e32 v34, exec_hi, v34
	v_and_b32_e32 v33, exec_lo, v33
	v_xor_b32_e32 v36, s41, v31
	v_xor_b32_e32 v31, s40, v31
	v_ashrrev_i32_e32 v35, 31, v35
	v_cmp_gt_i64_e64 s[40:41], 0, v[3:4]
	v_not_b32_e32 v37, v4
	v_lshlrev_b32_e32 v4, 27, v30
	v_and_b32_e32 v34, v34, v36
	v_and_b32_e32 v31, v33, v31
	v_xor_b32_e32 v33, vcc_hi, v35
	v_xor_b32_e32 v35, vcc_lo, v35
	v_ashrrev_i32_e32 v36, 31, v37
	v_cmp_gt_i64_e32 vcc, 0, v[3:4]
	v_not_b32_e32 v37, v4
	v_lshlrev_b32_e32 v4, 26, v30
	v_and_b32_e32 v33, v34, v33
	v_and_b32_e32 v31, v31, v35
	v_xor_b32_e32 v34, s41, v36
	v_xor_b32_e32 v35, s40, v36
	v_ashrrev_i32_e32 v36, 31, v37
	v_cmp_gt_i64_e64 s[40:41], 0, v[3:4]
	v_not_b32_e32 v37, v4
	v_lshlrev_b32_e32 v4, 25, v30
	v_and_b32_e32 v33, v33, v34
	v_and_b32_e32 v31, v31, v35
	v_xor_b32_e32 v34, vcc_hi, v36
	v_xor_b32_e32 v35, vcc_lo, v36
	v_ashrrev_i32_e32 v36, 31, v37
	v_cmp_gt_i64_e32 vcc, 0, v[3:4]
	v_not_b32_e32 v37, v4
	v_mul_lo_u32 v32, v30, 20
	v_lshlrev_b32_e32 v4, 24, v30
	v_and_b32_e32 v30, v33, v34
	v_and_b32_e32 v31, v31, v35
	v_xor_b32_e32 v33, s41, v36
	v_xor_b32_e32 v34, s40, v36
	v_ashrrev_i32_e32 v35, 31, v37
	v_mad_u32_u24 v6, v2, s43, v1
	v_and_b32_e32 v30, v30, v33
	v_and_b32_e32 v31, v31, v34
	v_xor_b32_e32 v33, vcc_hi, v35
	v_xor_b32_e32 v34, vcc_lo, v35
	v_cmp_gt_i64_e64 s[40:41], 0, v[3:4]
	v_not_b32_e32 v4, v4
	v_and_b32_e32 v33, v30, v33
	v_and_b32_e32 v34, v31, v34
	v_ashrrev_i32_e32 v4, 31, v4
	v_xor_b32_e32 v35, s41, v4
	v_xor_b32_e32 v4, s40, v4
	v_and_b32_e32 v4, v34, v4
	v_mul_u32_u24_e32 v29, 20, v0
	ds_write2_b32 v29, v3, v3 offset0:4 offset1:5
	ds_write2_b32 v29, v3, v3 offset0:6 offset1:7
	ds_write_b32 v29, v3 offset:32
	s_waitcnt vmcnt(0) lgkmcnt(0)
	s_barrier
	; wave barrier
	v_mad_u64_u32 v[30:31], s[42:43], v6, v5, v[0:1]
	v_and_b32_e32 v5, v33, v35
	v_cmp_ne_u64_e32 vcc, 0, v[4:5]
	v_lshrrev_b32_e32 v6, 6, v30
	v_mbcnt_lo_u32_b32 v30, v4, 0
	v_mbcnt_hi_u32_b32 v30, v5, v30
	v_cmp_eq_u32_e64 s[40:41], 0, v30
	v_lshl_add_u32 v31, v6, 2, v32
	s_and_b64 s[42:43], vcc, s[40:41]
	s_and_saveexec_b64 s[40:41], s[42:43]
; %bb.38:
	v_bcnt_u32_b32 v4, v4, 0
	v_bcnt_u32_b32 v4, v5, v4
	ds_write_b32 v31, v4 offset:16
; %bb.39:
	s_or_b64 exec, exec, s[40:41]
	v_lshrrev_b32_e32 v4, s92, v7
	v_and_b32_e32 v5, s94, v4
	v_mul_lo_u32 v4, v5, 20
	v_and_b32_e32 v34, 1, v5
	; wave barrier
	v_lshl_add_u32 v33, v6, 2, v4
	v_add_co_u32_e32 v4, vcc, -1, v34
	v_addc_co_u32_e64 v35, s[40:41], 0, -1, vcc
	v_cmp_ne_u32_e32 vcc, 0, v34
	v_xor_b32_e32 v4, vcc_lo, v4
	v_xor_b32_e32 v34, vcc_hi, v35
	v_and_b32_e32 v35, exec_lo, v4
	v_lshlrev_b32_e32 v4, 30, v5
	v_cmp_gt_i64_e32 vcc, 0, v[3:4]
	v_not_b32_e32 v4, v4
	v_ashrrev_i32_e32 v4, 31, v4
	v_xor_b32_e32 v36, vcc_hi, v4
	v_xor_b32_e32 v4, vcc_lo, v4
	v_and_b32_e32 v35, v35, v4
	v_lshlrev_b32_e32 v4, 29, v5
	v_cmp_gt_i64_e32 vcc, 0, v[3:4]
	v_not_b32_e32 v4, v4
	v_and_b32_e32 v34, exec_hi, v34
	v_ashrrev_i32_e32 v4, 31, v4
	v_and_b32_e32 v34, v34, v36
	v_xor_b32_e32 v36, vcc_hi, v4
	v_xor_b32_e32 v4, vcc_lo, v4
	v_and_b32_e32 v35, v35, v4
	v_lshlrev_b32_e32 v4, 28, v5
	v_cmp_gt_i64_e32 vcc, 0, v[3:4]
	v_not_b32_e32 v4, v4
	v_ashrrev_i32_e32 v4, 31, v4
	v_and_b32_e32 v34, v34, v36
	v_xor_b32_e32 v36, vcc_hi, v4
	v_xor_b32_e32 v4, vcc_lo, v4
	v_and_b32_e32 v35, v35, v4
	v_lshlrev_b32_e32 v4, 27, v5
	v_cmp_gt_i64_e32 vcc, 0, v[3:4]
	v_not_b32_e32 v4, v4
	;; [unrolled: 8-line block ×5, first 2 shown]
	v_ashrrev_i32_e32 v3, 31, v3
	v_xor_b32_e32 v4, vcc_hi, v3
	v_xor_b32_e32 v3, vcc_lo, v3
	ds_read_b32 v32, v33 offset:16
	v_and_b32_e32 v34, v34, v36
	v_and_b32_e32 v3, v35, v3
	;; [unrolled: 1-line block ×3, first 2 shown]
	v_mbcnt_lo_u32_b32 v5, v3, 0
	v_mbcnt_hi_u32_b32 v34, v4, v5
	v_cmp_ne_u64_e32 vcc, 0, v[3:4]
	v_cmp_eq_u32_e64 s[40:41], 0, v34
	s_and_b64 s[42:43], vcc, s[40:41]
	; wave barrier
	s_and_saveexec_b64 s[40:41], s[42:43]
	s_cbranch_execz .LBB14_41
; %bb.40:
	v_bcnt_u32_b32 v3, v3, 0
	v_bcnt_u32_b32 v3, v4, v3
	s_waitcnt lgkmcnt(0)
	v_add_u32_e32 v3, v32, v3
	ds_write_b32 v33, v3 offset:16
.LBB14_41:
	s_or_b64 exec, exec, s[40:41]
	v_lshrrev_b32_e32 v3, s92, v13
	v_and_b32_e32 v5, s94, v3
	v_mul_lo_u32 v3, v5, 20
	v_and_b32_e32 v4, 1, v5
	v_add_co_u32_e32 v37, vcc, -1, v4
	v_addc_co_u32_e64 v38, s[40:41], 0, -1, vcc
	v_cmp_ne_u32_e32 vcc, 0, v4
	v_xor_b32_e32 v4, vcc_hi, v38
	v_lshl_add_u32 v36, v6, 2, v3
	v_mov_b32_e32 v3, 0
	v_and_b32_e32 v38, exec_hi, v4
	v_lshlrev_b32_e32 v4, 30, v5
	v_xor_b32_e32 v37, vcc_lo, v37
	v_cmp_gt_i64_e32 vcc, 0, v[3:4]
	v_not_b32_e32 v4, v4
	v_ashrrev_i32_e32 v4, 31, v4
	v_and_b32_e32 v37, exec_lo, v37
	v_xor_b32_e32 v39, vcc_hi, v4
	v_xor_b32_e32 v4, vcc_lo, v4
	v_and_b32_e32 v37, v37, v4
	v_lshlrev_b32_e32 v4, 29, v5
	v_cmp_gt_i64_e32 vcc, 0, v[3:4]
	v_not_b32_e32 v4, v4
	v_ashrrev_i32_e32 v4, 31, v4
	v_and_b32_e32 v38, v38, v39
	v_xor_b32_e32 v39, vcc_hi, v4
	v_xor_b32_e32 v4, vcc_lo, v4
	v_and_b32_e32 v37, v37, v4
	v_lshlrev_b32_e32 v4, 28, v5
	v_cmp_gt_i64_e32 vcc, 0, v[3:4]
	v_not_b32_e32 v4, v4
	v_ashrrev_i32_e32 v4, 31, v4
	v_and_b32_e32 v38, v38, v39
	;; [unrolled: 8-line block ×5, first 2 shown]
	v_xor_b32_e32 v39, vcc_hi, v4
	v_xor_b32_e32 v4, vcc_lo, v4
	v_and_b32_e32 v37, v37, v4
	v_lshlrev_b32_e32 v4, 24, v5
	v_cmp_gt_i64_e32 vcc, 0, v[3:4]
	v_not_b32_e32 v4, v4
	v_ashrrev_i32_e32 v4, 31, v4
	v_xor_b32_e32 v5, vcc_hi, v4
	v_xor_b32_e32 v4, vcc_lo, v4
	; wave barrier
	ds_read_b32 v35, v36 offset:16
	v_and_b32_e32 v38, v38, v39
	v_and_b32_e32 v4, v37, v4
	;; [unrolled: 1-line block ×3, first 2 shown]
	v_mbcnt_lo_u32_b32 v37, v4, 0
	v_mbcnt_hi_u32_b32 v37, v5, v37
	v_cmp_ne_u64_e32 vcc, 0, v[4:5]
	v_cmp_eq_u32_e64 s[40:41], 0, v37
	s_and_b64 s[42:43], vcc, s[40:41]
	; wave barrier
	s_and_saveexec_b64 s[40:41], s[42:43]
	s_cbranch_execz .LBB14_43
; %bb.42:
	v_bcnt_u32_b32 v4, v4, 0
	v_bcnt_u32_b32 v4, v5, v4
	s_waitcnt lgkmcnt(0)
	v_add_u32_e32 v4, v35, v4
	ds_write_b32 v36, v4 offset:16
.LBB14_43:
	s_or_b64 exec, exec, s[40:41]
	v_lshrrev_b32_e32 v4, s92, v12
	v_and_b32_e32 v5, s94, v4
	v_mul_lo_u32 v4, v5, 20
	v_and_b32_e32 v40, 1, v5
	; wave barrier
	v_lshl_add_u32 v39, v6, 2, v4
	v_add_co_u32_e32 v4, vcc, -1, v40
	v_addc_co_u32_e64 v41, s[40:41], 0, -1, vcc
	v_cmp_ne_u32_e32 vcc, 0, v40
	v_xor_b32_e32 v4, vcc_lo, v4
	v_xor_b32_e32 v40, vcc_hi, v41
	v_and_b32_e32 v41, exec_lo, v4
	v_lshlrev_b32_e32 v4, 30, v5
	v_cmp_gt_i64_e32 vcc, 0, v[3:4]
	v_not_b32_e32 v4, v4
	v_ashrrev_i32_e32 v4, 31, v4
	v_xor_b32_e32 v42, vcc_hi, v4
	v_xor_b32_e32 v4, vcc_lo, v4
	v_and_b32_e32 v41, v41, v4
	v_lshlrev_b32_e32 v4, 29, v5
	v_cmp_gt_i64_e32 vcc, 0, v[3:4]
	v_not_b32_e32 v4, v4
	v_and_b32_e32 v40, exec_hi, v40
	v_ashrrev_i32_e32 v4, 31, v4
	v_and_b32_e32 v40, v40, v42
	v_xor_b32_e32 v42, vcc_hi, v4
	v_xor_b32_e32 v4, vcc_lo, v4
	v_and_b32_e32 v41, v41, v4
	v_lshlrev_b32_e32 v4, 28, v5
	v_cmp_gt_i64_e32 vcc, 0, v[3:4]
	v_not_b32_e32 v4, v4
	v_ashrrev_i32_e32 v4, 31, v4
	v_and_b32_e32 v40, v40, v42
	v_xor_b32_e32 v42, vcc_hi, v4
	v_xor_b32_e32 v4, vcc_lo, v4
	v_and_b32_e32 v41, v41, v4
	v_lshlrev_b32_e32 v4, 27, v5
	v_cmp_gt_i64_e32 vcc, 0, v[3:4]
	v_not_b32_e32 v4, v4
	;; [unrolled: 8-line block ×5, first 2 shown]
	v_ashrrev_i32_e32 v3, 31, v3
	v_xor_b32_e32 v4, vcc_hi, v3
	v_xor_b32_e32 v3, vcc_lo, v3
	ds_read_b32 v38, v39 offset:16
	v_and_b32_e32 v40, v40, v42
	v_and_b32_e32 v3, v41, v3
	;; [unrolled: 1-line block ×3, first 2 shown]
	v_mbcnt_lo_u32_b32 v5, v3, 0
	v_mbcnt_hi_u32_b32 v40, v4, v5
	v_cmp_ne_u64_e32 vcc, 0, v[3:4]
	v_cmp_eq_u32_e64 s[40:41], 0, v40
	s_and_b64 s[42:43], vcc, s[40:41]
	; wave barrier
	s_and_saveexec_b64 s[40:41], s[42:43]
	s_cbranch_execz .LBB14_45
; %bb.44:
	v_bcnt_u32_b32 v3, v3, 0
	v_bcnt_u32_b32 v3, v4, v3
	s_waitcnt lgkmcnt(0)
	v_add_u32_e32 v3, v38, v3
	ds_write_b32 v39, v3 offset:16
.LBB14_45:
	s_or_b64 exec, exec, s[40:41]
	v_lshrrev_b32_e32 v3, s92, v15
	v_and_b32_e32 v5, s94, v3
	v_mul_lo_u32 v3, v5, 20
	v_and_b32_e32 v4, 1, v5
	v_add_co_u32_e32 v43, vcc, -1, v4
	v_addc_co_u32_e64 v44, s[40:41], 0, -1, vcc
	v_cmp_ne_u32_e32 vcc, 0, v4
	v_xor_b32_e32 v4, vcc_hi, v44
	v_lshl_add_u32 v42, v6, 2, v3
	v_mov_b32_e32 v3, 0
	v_and_b32_e32 v44, exec_hi, v4
	v_lshlrev_b32_e32 v4, 30, v5
	v_xor_b32_e32 v43, vcc_lo, v43
	v_cmp_gt_i64_e32 vcc, 0, v[3:4]
	v_not_b32_e32 v4, v4
	v_ashrrev_i32_e32 v4, 31, v4
	v_and_b32_e32 v43, exec_lo, v43
	v_xor_b32_e32 v45, vcc_hi, v4
	v_xor_b32_e32 v4, vcc_lo, v4
	v_and_b32_e32 v43, v43, v4
	v_lshlrev_b32_e32 v4, 29, v5
	v_cmp_gt_i64_e32 vcc, 0, v[3:4]
	v_not_b32_e32 v4, v4
	v_ashrrev_i32_e32 v4, 31, v4
	v_and_b32_e32 v44, v44, v45
	v_xor_b32_e32 v45, vcc_hi, v4
	v_xor_b32_e32 v4, vcc_lo, v4
	v_and_b32_e32 v43, v43, v4
	v_lshlrev_b32_e32 v4, 28, v5
	v_cmp_gt_i64_e32 vcc, 0, v[3:4]
	v_not_b32_e32 v4, v4
	v_ashrrev_i32_e32 v4, 31, v4
	v_and_b32_e32 v44, v44, v45
	;; [unrolled: 8-line block ×5, first 2 shown]
	v_xor_b32_e32 v45, vcc_hi, v4
	v_xor_b32_e32 v4, vcc_lo, v4
	v_and_b32_e32 v43, v43, v4
	v_lshlrev_b32_e32 v4, 24, v5
	v_cmp_gt_i64_e32 vcc, 0, v[3:4]
	v_not_b32_e32 v4, v4
	v_ashrrev_i32_e32 v4, 31, v4
	v_xor_b32_e32 v5, vcc_hi, v4
	v_xor_b32_e32 v4, vcc_lo, v4
	; wave barrier
	ds_read_b32 v41, v42 offset:16
	v_and_b32_e32 v44, v44, v45
	v_and_b32_e32 v4, v43, v4
	;; [unrolled: 1-line block ×3, first 2 shown]
	v_mbcnt_lo_u32_b32 v43, v4, 0
	v_mbcnt_hi_u32_b32 v43, v5, v43
	v_cmp_ne_u64_e32 vcc, 0, v[4:5]
	v_cmp_eq_u32_e64 s[40:41], 0, v43
	s_and_b64 s[42:43], vcc, s[40:41]
	; wave barrier
	s_and_saveexec_b64 s[40:41], s[42:43]
	s_cbranch_execz .LBB14_47
; %bb.46:
	v_bcnt_u32_b32 v4, v4, 0
	v_bcnt_u32_b32 v4, v5, v4
	s_waitcnt lgkmcnt(0)
	v_add_u32_e32 v4, v41, v4
	ds_write_b32 v42, v4 offset:16
.LBB14_47:
	s_or_b64 exec, exec, s[40:41]
	v_lshrrev_b32_e32 v4, s92, v14
	v_and_b32_e32 v5, s94, v4
	v_mul_lo_u32 v4, v5, 20
	v_and_b32_e32 v46, 1, v5
	; wave barrier
	v_lshl_add_u32 v45, v6, 2, v4
	v_add_co_u32_e32 v4, vcc, -1, v46
	v_addc_co_u32_e64 v47, s[40:41], 0, -1, vcc
	v_cmp_ne_u32_e32 vcc, 0, v46
	v_xor_b32_e32 v4, vcc_lo, v4
	v_xor_b32_e32 v46, vcc_hi, v47
	v_and_b32_e32 v47, exec_lo, v4
	v_lshlrev_b32_e32 v4, 30, v5
	v_cmp_gt_i64_e32 vcc, 0, v[3:4]
	v_not_b32_e32 v4, v4
	v_ashrrev_i32_e32 v4, 31, v4
	v_xor_b32_e32 v48, vcc_hi, v4
	v_xor_b32_e32 v4, vcc_lo, v4
	v_and_b32_e32 v47, v47, v4
	v_lshlrev_b32_e32 v4, 29, v5
	v_cmp_gt_i64_e32 vcc, 0, v[3:4]
	v_not_b32_e32 v4, v4
	v_and_b32_e32 v46, exec_hi, v46
	v_ashrrev_i32_e32 v4, 31, v4
	v_and_b32_e32 v46, v46, v48
	v_xor_b32_e32 v48, vcc_hi, v4
	v_xor_b32_e32 v4, vcc_lo, v4
	v_and_b32_e32 v47, v47, v4
	v_lshlrev_b32_e32 v4, 28, v5
	v_cmp_gt_i64_e32 vcc, 0, v[3:4]
	v_not_b32_e32 v4, v4
	v_ashrrev_i32_e32 v4, 31, v4
	v_and_b32_e32 v46, v46, v48
	v_xor_b32_e32 v48, vcc_hi, v4
	v_xor_b32_e32 v4, vcc_lo, v4
	v_and_b32_e32 v47, v47, v4
	v_lshlrev_b32_e32 v4, 27, v5
	v_cmp_gt_i64_e32 vcc, 0, v[3:4]
	v_not_b32_e32 v4, v4
	;; [unrolled: 8-line block ×5, first 2 shown]
	v_ashrrev_i32_e32 v3, 31, v3
	v_xor_b32_e32 v4, vcc_hi, v3
	v_xor_b32_e32 v3, vcc_lo, v3
	ds_read_b32 v44, v45 offset:16
	v_and_b32_e32 v46, v46, v48
	v_and_b32_e32 v3, v47, v3
	v_and_b32_e32 v4, v46, v4
	v_mbcnt_lo_u32_b32 v5, v3, 0
	v_mbcnt_hi_u32_b32 v46, v4, v5
	v_cmp_ne_u64_e32 vcc, 0, v[3:4]
	v_cmp_eq_u32_e64 s[40:41], 0, v46
	s_and_b64 s[42:43], vcc, s[40:41]
	; wave barrier
	s_and_saveexec_b64 s[40:41], s[42:43]
	s_cbranch_execz .LBB14_49
; %bb.48:
	v_bcnt_u32_b32 v3, v3, 0
	v_bcnt_u32_b32 v3, v4, v3
	s_waitcnt lgkmcnt(0)
	v_add_u32_e32 v3, v44, v3
	ds_write_b32 v45, v3 offset:16
.LBB14_49:
	s_or_b64 exec, exec, s[40:41]
	v_lshrrev_b32_e32 v3, s92, v17
	v_and_b32_e32 v5, s94, v3
	v_mul_lo_u32 v3, v5, 20
	v_and_b32_e32 v4, 1, v5
	v_add_co_u32_e32 v49, vcc, -1, v4
	v_addc_co_u32_e64 v50, s[40:41], 0, -1, vcc
	v_cmp_ne_u32_e32 vcc, 0, v4
	v_xor_b32_e32 v4, vcc_hi, v50
	v_lshl_add_u32 v48, v6, 2, v3
	v_mov_b32_e32 v3, 0
	v_and_b32_e32 v50, exec_hi, v4
	v_lshlrev_b32_e32 v4, 30, v5
	v_xor_b32_e32 v49, vcc_lo, v49
	v_cmp_gt_i64_e32 vcc, 0, v[3:4]
	v_not_b32_e32 v4, v4
	v_ashrrev_i32_e32 v4, 31, v4
	v_and_b32_e32 v49, exec_lo, v49
	v_xor_b32_e32 v51, vcc_hi, v4
	v_xor_b32_e32 v4, vcc_lo, v4
	v_and_b32_e32 v49, v49, v4
	v_lshlrev_b32_e32 v4, 29, v5
	v_cmp_gt_i64_e32 vcc, 0, v[3:4]
	v_not_b32_e32 v4, v4
	v_ashrrev_i32_e32 v4, 31, v4
	v_and_b32_e32 v50, v50, v51
	v_xor_b32_e32 v51, vcc_hi, v4
	v_xor_b32_e32 v4, vcc_lo, v4
	v_and_b32_e32 v49, v49, v4
	v_lshlrev_b32_e32 v4, 28, v5
	v_cmp_gt_i64_e32 vcc, 0, v[3:4]
	v_not_b32_e32 v4, v4
	v_ashrrev_i32_e32 v4, 31, v4
	v_and_b32_e32 v50, v50, v51
	;; [unrolled: 8-line block ×5, first 2 shown]
	v_xor_b32_e32 v51, vcc_hi, v4
	v_xor_b32_e32 v4, vcc_lo, v4
	v_and_b32_e32 v49, v49, v4
	v_lshlrev_b32_e32 v4, 24, v5
	v_cmp_gt_i64_e32 vcc, 0, v[3:4]
	v_not_b32_e32 v4, v4
	v_ashrrev_i32_e32 v4, 31, v4
	v_xor_b32_e32 v5, vcc_hi, v4
	v_xor_b32_e32 v4, vcc_lo, v4
	; wave barrier
	ds_read_b32 v47, v48 offset:16
	v_and_b32_e32 v50, v50, v51
	v_and_b32_e32 v4, v49, v4
	;; [unrolled: 1-line block ×3, first 2 shown]
	v_mbcnt_lo_u32_b32 v49, v4, 0
	v_mbcnt_hi_u32_b32 v49, v5, v49
	v_cmp_ne_u64_e32 vcc, 0, v[4:5]
	v_cmp_eq_u32_e64 s[40:41], 0, v49
	s_and_b64 s[42:43], vcc, s[40:41]
	; wave barrier
	s_and_saveexec_b64 s[40:41], s[42:43]
	s_cbranch_execz .LBB14_51
; %bb.50:
	v_bcnt_u32_b32 v4, v4, 0
	v_bcnt_u32_b32 v4, v5, v4
	s_waitcnt lgkmcnt(0)
	v_add_u32_e32 v4, v47, v4
	ds_write_b32 v48, v4 offset:16
.LBB14_51:
	s_or_b64 exec, exec, s[40:41]
	v_lshrrev_b32_e32 v4, s92, v16
	v_and_b32_e32 v5, s94, v4
	v_mul_lo_u32 v4, v5, 20
	v_and_b32_e32 v52, 1, v5
	; wave barrier
	v_lshl_add_u32 v51, v6, 2, v4
	v_add_co_u32_e32 v4, vcc, -1, v52
	v_addc_co_u32_e64 v53, s[40:41], 0, -1, vcc
	v_cmp_ne_u32_e32 vcc, 0, v52
	v_xor_b32_e32 v4, vcc_lo, v4
	v_xor_b32_e32 v52, vcc_hi, v53
	v_and_b32_e32 v53, exec_lo, v4
	v_lshlrev_b32_e32 v4, 30, v5
	v_cmp_gt_i64_e32 vcc, 0, v[3:4]
	v_not_b32_e32 v4, v4
	v_ashrrev_i32_e32 v4, 31, v4
	v_xor_b32_e32 v54, vcc_hi, v4
	v_xor_b32_e32 v4, vcc_lo, v4
	v_and_b32_e32 v53, v53, v4
	v_lshlrev_b32_e32 v4, 29, v5
	v_cmp_gt_i64_e32 vcc, 0, v[3:4]
	v_not_b32_e32 v4, v4
	v_and_b32_e32 v52, exec_hi, v52
	v_ashrrev_i32_e32 v4, 31, v4
	v_and_b32_e32 v52, v52, v54
	v_xor_b32_e32 v54, vcc_hi, v4
	v_xor_b32_e32 v4, vcc_lo, v4
	v_and_b32_e32 v53, v53, v4
	v_lshlrev_b32_e32 v4, 28, v5
	v_cmp_gt_i64_e32 vcc, 0, v[3:4]
	v_not_b32_e32 v4, v4
	v_ashrrev_i32_e32 v4, 31, v4
	v_and_b32_e32 v52, v52, v54
	v_xor_b32_e32 v54, vcc_hi, v4
	v_xor_b32_e32 v4, vcc_lo, v4
	v_and_b32_e32 v53, v53, v4
	v_lshlrev_b32_e32 v4, 27, v5
	v_cmp_gt_i64_e32 vcc, 0, v[3:4]
	v_not_b32_e32 v4, v4
	;; [unrolled: 8-line block ×5, first 2 shown]
	v_ashrrev_i32_e32 v3, 31, v3
	v_xor_b32_e32 v4, vcc_hi, v3
	v_xor_b32_e32 v3, vcc_lo, v3
	ds_read_b32 v50, v51 offset:16
	v_and_b32_e32 v52, v52, v54
	v_and_b32_e32 v3, v53, v3
	;; [unrolled: 1-line block ×3, first 2 shown]
	v_mbcnt_lo_u32_b32 v5, v3, 0
	v_mbcnt_hi_u32_b32 v52, v4, v5
	v_cmp_ne_u64_e32 vcc, 0, v[3:4]
	v_cmp_eq_u32_e64 s[40:41], 0, v52
	s_and_b64 s[42:43], vcc, s[40:41]
	; wave barrier
	s_and_saveexec_b64 s[40:41], s[42:43]
	s_cbranch_execz .LBB14_53
; %bb.52:
	v_bcnt_u32_b32 v3, v3, 0
	v_bcnt_u32_b32 v3, v4, v3
	s_waitcnt lgkmcnt(0)
	v_add_u32_e32 v3, v50, v3
	ds_write_b32 v51, v3 offset:16
.LBB14_53:
	s_or_b64 exec, exec, s[40:41]
	v_lshrrev_b32_e32 v3, s92, v19
	v_and_b32_e32 v5, s94, v3
	v_mul_lo_u32 v3, v5, 20
	v_and_b32_e32 v4, 1, v5
	v_add_co_u32_e32 v55, vcc, -1, v4
	v_addc_co_u32_e64 v56, s[40:41], 0, -1, vcc
	v_cmp_ne_u32_e32 vcc, 0, v4
	v_xor_b32_e32 v4, vcc_hi, v56
	v_lshl_add_u32 v54, v6, 2, v3
	v_mov_b32_e32 v3, 0
	v_and_b32_e32 v56, exec_hi, v4
	v_lshlrev_b32_e32 v4, 30, v5
	v_xor_b32_e32 v55, vcc_lo, v55
	v_cmp_gt_i64_e32 vcc, 0, v[3:4]
	v_not_b32_e32 v4, v4
	v_ashrrev_i32_e32 v4, 31, v4
	v_and_b32_e32 v55, exec_lo, v55
	v_xor_b32_e32 v57, vcc_hi, v4
	v_xor_b32_e32 v4, vcc_lo, v4
	v_and_b32_e32 v55, v55, v4
	v_lshlrev_b32_e32 v4, 29, v5
	v_cmp_gt_i64_e32 vcc, 0, v[3:4]
	v_not_b32_e32 v4, v4
	v_ashrrev_i32_e32 v4, 31, v4
	v_and_b32_e32 v56, v56, v57
	v_xor_b32_e32 v57, vcc_hi, v4
	v_xor_b32_e32 v4, vcc_lo, v4
	v_and_b32_e32 v55, v55, v4
	v_lshlrev_b32_e32 v4, 28, v5
	v_cmp_gt_i64_e32 vcc, 0, v[3:4]
	v_not_b32_e32 v4, v4
	v_ashrrev_i32_e32 v4, 31, v4
	v_and_b32_e32 v56, v56, v57
	;; [unrolled: 8-line block ×5, first 2 shown]
	v_xor_b32_e32 v57, vcc_hi, v4
	v_xor_b32_e32 v4, vcc_lo, v4
	v_and_b32_e32 v55, v55, v4
	v_lshlrev_b32_e32 v4, 24, v5
	v_cmp_gt_i64_e32 vcc, 0, v[3:4]
	v_not_b32_e32 v4, v4
	v_ashrrev_i32_e32 v4, 31, v4
	v_xor_b32_e32 v5, vcc_hi, v4
	v_xor_b32_e32 v4, vcc_lo, v4
	; wave barrier
	ds_read_b32 v53, v54 offset:16
	v_and_b32_e32 v56, v56, v57
	v_and_b32_e32 v4, v55, v4
	;; [unrolled: 1-line block ×3, first 2 shown]
	v_mbcnt_lo_u32_b32 v55, v4, 0
	v_mbcnt_hi_u32_b32 v55, v5, v55
	v_cmp_ne_u64_e32 vcc, 0, v[4:5]
	v_cmp_eq_u32_e64 s[40:41], 0, v55
	s_and_b64 s[42:43], vcc, s[40:41]
	; wave barrier
	s_and_saveexec_b64 s[40:41], s[42:43]
	s_cbranch_execz .LBB14_55
; %bb.54:
	v_bcnt_u32_b32 v4, v4, 0
	v_bcnt_u32_b32 v4, v5, v4
	s_waitcnt lgkmcnt(0)
	v_add_u32_e32 v4, v53, v4
	ds_write_b32 v54, v4 offset:16
.LBB14_55:
	s_or_b64 exec, exec, s[40:41]
	v_lshrrev_b32_e32 v4, s92, v18
	v_and_b32_e32 v5, s94, v4
	v_mul_lo_u32 v4, v5, 20
	v_and_b32_e32 v58, 1, v5
	; wave barrier
	v_lshl_add_u32 v57, v6, 2, v4
	v_add_co_u32_e32 v4, vcc, -1, v58
	v_addc_co_u32_e64 v59, s[40:41], 0, -1, vcc
	v_cmp_ne_u32_e32 vcc, 0, v58
	v_xor_b32_e32 v4, vcc_lo, v4
	v_xor_b32_e32 v58, vcc_hi, v59
	v_and_b32_e32 v59, exec_lo, v4
	v_lshlrev_b32_e32 v4, 30, v5
	v_cmp_gt_i64_e32 vcc, 0, v[3:4]
	v_not_b32_e32 v4, v4
	v_ashrrev_i32_e32 v4, 31, v4
	v_xor_b32_e32 v60, vcc_hi, v4
	v_xor_b32_e32 v4, vcc_lo, v4
	v_and_b32_e32 v59, v59, v4
	v_lshlrev_b32_e32 v4, 29, v5
	v_cmp_gt_i64_e32 vcc, 0, v[3:4]
	v_not_b32_e32 v4, v4
	v_and_b32_e32 v58, exec_hi, v58
	v_ashrrev_i32_e32 v4, 31, v4
	v_and_b32_e32 v58, v58, v60
	v_xor_b32_e32 v60, vcc_hi, v4
	v_xor_b32_e32 v4, vcc_lo, v4
	v_and_b32_e32 v59, v59, v4
	v_lshlrev_b32_e32 v4, 28, v5
	v_cmp_gt_i64_e32 vcc, 0, v[3:4]
	v_not_b32_e32 v4, v4
	v_ashrrev_i32_e32 v4, 31, v4
	v_and_b32_e32 v58, v58, v60
	v_xor_b32_e32 v60, vcc_hi, v4
	v_xor_b32_e32 v4, vcc_lo, v4
	v_and_b32_e32 v59, v59, v4
	v_lshlrev_b32_e32 v4, 27, v5
	v_cmp_gt_i64_e32 vcc, 0, v[3:4]
	v_not_b32_e32 v4, v4
	;; [unrolled: 8-line block ×5, first 2 shown]
	v_ashrrev_i32_e32 v3, 31, v3
	v_xor_b32_e32 v4, vcc_hi, v3
	v_xor_b32_e32 v3, vcc_lo, v3
	ds_read_b32 v56, v57 offset:16
	v_and_b32_e32 v58, v58, v60
	v_and_b32_e32 v3, v59, v3
	;; [unrolled: 1-line block ×3, first 2 shown]
	v_mbcnt_lo_u32_b32 v5, v3, 0
	v_mbcnt_hi_u32_b32 v58, v4, v5
	v_cmp_ne_u64_e32 vcc, 0, v[3:4]
	v_cmp_eq_u32_e64 s[40:41], 0, v58
	s_and_b64 s[42:43], vcc, s[40:41]
	; wave barrier
	s_and_saveexec_b64 s[40:41], s[42:43]
	s_cbranch_execz .LBB14_57
; %bb.56:
	v_bcnt_u32_b32 v3, v3, 0
	v_bcnt_u32_b32 v3, v4, v3
	s_waitcnt lgkmcnt(0)
	v_add_u32_e32 v3, v56, v3
	ds_write_b32 v57, v3 offset:16
.LBB14_57:
	s_or_b64 exec, exec, s[40:41]
	v_lshrrev_b32_e32 v3, s92, v22
	v_and_b32_e32 v5, s94, v3
	v_mul_lo_u32 v3, v5, 20
	v_and_b32_e32 v4, 1, v5
	v_add_co_u32_e32 v61, vcc, -1, v4
	v_addc_co_u32_e64 v62, s[40:41], 0, -1, vcc
	v_cmp_ne_u32_e32 vcc, 0, v4
	v_xor_b32_e32 v4, vcc_hi, v62
	v_lshl_add_u32 v60, v6, 2, v3
	v_mov_b32_e32 v3, 0
	v_and_b32_e32 v62, exec_hi, v4
	v_lshlrev_b32_e32 v4, 30, v5
	v_xor_b32_e32 v61, vcc_lo, v61
	v_cmp_gt_i64_e32 vcc, 0, v[3:4]
	v_not_b32_e32 v4, v4
	v_ashrrev_i32_e32 v4, 31, v4
	v_and_b32_e32 v61, exec_lo, v61
	v_xor_b32_e32 v63, vcc_hi, v4
	v_xor_b32_e32 v4, vcc_lo, v4
	v_and_b32_e32 v61, v61, v4
	v_lshlrev_b32_e32 v4, 29, v5
	v_cmp_gt_i64_e32 vcc, 0, v[3:4]
	v_not_b32_e32 v4, v4
	v_ashrrev_i32_e32 v4, 31, v4
	v_and_b32_e32 v62, v62, v63
	v_xor_b32_e32 v63, vcc_hi, v4
	v_xor_b32_e32 v4, vcc_lo, v4
	v_and_b32_e32 v61, v61, v4
	v_lshlrev_b32_e32 v4, 28, v5
	v_cmp_gt_i64_e32 vcc, 0, v[3:4]
	v_not_b32_e32 v4, v4
	v_ashrrev_i32_e32 v4, 31, v4
	v_and_b32_e32 v62, v62, v63
	;; [unrolled: 8-line block ×5, first 2 shown]
	v_xor_b32_e32 v63, vcc_hi, v4
	v_xor_b32_e32 v4, vcc_lo, v4
	v_and_b32_e32 v61, v61, v4
	v_lshlrev_b32_e32 v4, 24, v5
	v_cmp_gt_i64_e32 vcc, 0, v[3:4]
	v_not_b32_e32 v4, v4
	v_ashrrev_i32_e32 v4, 31, v4
	v_xor_b32_e32 v5, vcc_hi, v4
	v_xor_b32_e32 v4, vcc_lo, v4
	; wave barrier
	ds_read_b32 v59, v60 offset:16
	v_and_b32_e32 v62, v62, v63
	v_and_b32_e32 v4, v61, v4
	;; [unrolled: 1-line block ×3, first 2 shown]
	v_mbcnt_lo_u32_b32 v61, v4, 0
	v_mbcnt_hi_u32_b32 v61, v5, v61
	v_cmp_ne_u64_e32 vcc, 0, v[4:5]
	v_cmp_eq_u32_e64 s[40:41], 0, v61
	s_and_b64 s[42:43], vcc, s[40:41]
	; wave barrier
	s_and_saveexec_b64 s[40:41], s[42:43]
	s_cbranch_execz .LBB14_59
; %bb.58:
	v_bcnt_u32_b32 v4, v4, 0
	v_bcnt_u32_b32 v4, v5, v4
	s_waitcnt lgkmcnt(0)
	v_add_u32_e32 v4, v59, v4
	ds_write_b32 v60, v4 offset:16
.LBB14_59:
	s_or_b64 exec, exec, s[40:41]
	v_lshrrev_b32_e32 v4, s92, v21
	v_and_b32_e32 v5, s94, v4
	v_mul_lo_u32 v4, v5, 20
	v_and_b32_e32 v64, 1, v5
	; wave barrier
	v_lshl_add_u32 v63, v6, 2, v4
	v_add_co_u32_e32 v4, vcc, -1, v64
	v_addc_co_u32_e64 v65, s[40:41], 0, -1, vcc
	v_cmp_ne_u32_e32 vcc, 0, v64
	v_xor_b32_e32 v4, vcc_lo, v4
	v_xor_b32_e32 v64, vcc_hi, v65
	v_and_b32_e32 v65, exec_lo, v4
	v_lshlrev_b32_e32 v4, 30, v5
	v_cmp_gt_i64_e32 vcc, 0, v[3:4]
	v_not_b32_e32 v4, v4
	v_ashrrev_i32_e32 v4, 31, v4
	v_xor_b32_e32 v66, vcc_hi, v4
	v_xor_b32_e32 v4, vcc_lo, v4
	v_and_b32_e32 v65, v65, v4
	v_lshlrev_b32_e32 v4, 29, v5
	v_cmp_gt_i64_e32 vcc, 0, v[3:4]
	v_not_b32_e32 v4, v4
	v_and_b32_e32 v64, exec_hi, v64
	v_ashrrev_i32_e32 v4, 31, v4
	v_and_b32_e32 v64, v64, v66
	v_xor_b32_e32 v66, vcc_hi, v4
	v_xor_b32_e32 v4, vcc_lo, v4
	v_and_b32_e32 v65, v65, v4
	v_lshlrev_b32_e32 v4, 28, v5
	v_cmp_gt_i64_e32 vcc, 0, v[3:4]
	v_not_b32_e32 v4, v4
	v_ashrrev_i32_e32 v4, 31, v4
	v_and_b32_e32 v64, v64, v66
	v_xor_b32_e32 v66, vcc_hi, v4
	v_xor_b32_e32 v4, vcc_lo, v4
	v_and_b32_e32 v65, v65, v4
	v_lshlrev_b32_e32 v4, 27, v5
	v_cmp_gt_i64_e32 vcc, 0, v[3:4]
	v_not_b32_e32 v4, v4
	;; [unrolled: 8-line block ×5, first 2 shown]
	v_ashrrev_i32_e32 v3, 31, v3
	v_xor_b32_e32 v4, vcc_hi, v3
	v_xor_b32_e32 v3, vcc_lo, v3
	ds_read_b32 v62, v63 offset:16
	v_and_b32_e32 v64, v64, v66
	v_and_b32_e32 v3, v65, v3
	;; [unrolled: 1-line block ×3, first 2 shown]
	v_mbcnt_lo_u32_b32 v5, v3, 0
	v_mbcnt_hi_u32_b32 v64, v4, v5
	v_cmp_ne_u64_e32 vcc, 0, v[3:4]
	v_cmp_eq_u32_e64 s[40:41], 0, v64
	s_and_b64 s[42:43], vcc, s[40:41]
	; wave barrier
	s_and_saveexec_b64 s[40:41], s[42:43]
	s_cbranch_execz .LBB14_61
; %bb.60:
	v_bcnt_u32_b32 v3, v3, 0
	v_bcnt_u32_b32 v3, v4, v3
	s_waitcnt lgkmcnt(0)
	v_add_u32_e32 v3, v62, v3
	ds_write_b32 v63, v3 offset:16
.LBB14_61:
	s_or_b64 exec, exec, s[40:41]
	v_lshrrev_b32_e32 v3, s92, v24
	v_and_b32_e32 v5, s94, v3
	v_mul_lo_u32 v3, v5, 20
	v_and_b32_e32 v4, 1, v5
	v_add_co_u32_e32 v67, vcc, -1, v4
	v_addc_co_u32_e64 v68, s[40:41], 0, -1, vcc
	v_cmp_ne_u32_e32 vcc, 0, v4
	v_xor_b32_e32 v4, vcc_hi, v68
	v_lshl_add_u32 v66, v6, 2, v3
	v_mov_b32_e32 v3, 0
	v_and_b32_e32 v68, exec_hi, v4
	v_lshlrev_b32_e32 v4, 30, v5
	v_xor_b32_e32 v67, vcc_lo, v67
	v_cmp_gt_i64_e32 vcc, 0, v[3:4]
	v_not_b32_e32 v4, v4
	v_ashrrev_i32_e32 v4, 31, v4
	v_and_b32_e32 v67, exec_lo, v67
	v_xor_b32_e32 v69, vcc_hi, v4
	v_xor_b32_e32 v4, vcc_lo, v4
	v_and_b32_e32 v67, v67, v4
	v_lshlrev_b32_e32 v4, 29, v5
	v_cmp_gt_i64_e32 vcc, 0, v[3:4]
	v_not_b32_e32 v4, v4
	v_ashrrev_i32_e32 v4, 31, v4
	v_and_b32_e32 v68, v68, v69
	v_xor_b32_e32 v69, vcc_hi, v4
	v_xor_b32_e32 v4, vcc_lo, v4
	v_and_b32_e32 v67, v67, v4
	v_lshlrev_b32_e32 v4, 28, v5
	v_cmp_gt_i64_e32 vcc, 0, v[3:4]
	v_not_b32_e32 v4, v4
	v_ashrrev_i32_e32 v4, 31, v4
	v_and_b32_e32 v68, v68, v69
	;; [unrolled: 8-line block ×5, first 2 shown]
	v_xor_b32_e32 v69, vcc_hi, v4
	v_xor_b32_e32 v4, vcc_lo, v4
	v_and_b32_e32 v67, v67, v4
	v_lshlrev_b32_e32 v4, 24, v5
	v_cmp_gt_i64_e32 vcc, 0, v[3:4]
	v_not_b32_e32 v4, v4
	v_ashrrev_i32_e32 v4, 31, v4
	v_xor_b32_e32 v5, vcc_hi, v4
	v_xor_b32_e32 v4, vcc_lo, v4
	; wave barrier
	ds_read_b32 v65, v66 offset:16
	v_and_b32_e32 v68, v68, v69
	v_and_b32_e32 v4, v67, v4
	;; [unrolled: 1-line block ×3, first 2 shown]
	v_mbcnt_lo_u32_b32 v67, v4, 0
	v_mbcnt_hi_u32_b32 v67, v5, v67
	v_cmp_ne_u64_e32 vcc, 0, v[4:5]
	v_cmp_eq_u32_e64 s[40:41], 0, v67
	s_and_b64 s[42:43], vcc, s[40:41]
	; wave barrier
	s_and_saveexec_b64 s[40:41], s[42:43]
	s_cbranch_execz .LBB14_63
; %bb.62:
	v_bcnt_u32_b32 v4, v4, 0
	v_bcnt_u32_b32 v4, v5, v4
	s_waitcnt lgkmcnt(0)
	v_add_u32_e32 v4, v65, v4
	ds_write_b32 v66, v4 offset:16
.LBB14_63:
	s_or_b64 exec, exec, s[40:41]
	v_lshrrev_b32_e32 v4, s92, v23
	v_and_b32_e32 v5, s94, v4
	v_mul_lo_u32 v4, v5, 20
	v_and_b32_e32 v70, 1, v5
	; wave barrier
	v_lshl_add_u32 v69, v6, 2, v4
	v_add_co_u32_e32 v4, vcc, -1, v70
	v_addc_co_u32_e64 v71, s[40:41], 0, -1, vcc
	v_cmp_ne_u32_e32 vcc, 0, v70
	v_xor_b32_e32 v4, vcc_lo, v4
	v_xor_b32_e32 v70, vcc_hi, v71
	v_and_b32_e32 v71, exec_lo, v4
	v_lshlrev_b32_e32 v4, 30, v5
	v_cmp_gt_i64_e32 vcc, 0, v[3:4]
	v_not_b32_e32 v4, v4
	v_ashrrev_i32_e32 v4, 31, v4
	v_xor_b32_e32 v72, vcc_hi, v4
	v_xor_b32_e32 v4, vcc_lo, v4
	v_and_b32_e32 v71, v71, v4
	v_lshlrev_b32_e32 v4, 29, v5
	v_cmp_gt_i64_e32 vcc, 0, v[3:4]
	v_not_b32_e32 v4, v4
	v_and_b32_e32 v70, exec_hi, v70
	v_ashrrev_i32_e32 v4, 31, v4
	v_and_b32_e32 v70, v70, v72
	v_xor_b32_e32 v72, vcc_hi, v4
	v_xor_b32_e32 v4, vcc_lo, v4
	v_and_b32_e32 v71, v71, v4
	v_lshlrev_b32_e32 v4, 28, v5
	v_cmp_gt_i64_e32 vcc, 0, v[3:4]
	v_not_b32_e32 v4, v4
	v_ashrrev_i32_e32 v4, 31, v4
	v_and_b32_e32 v70, v70, v72
	v_xor_b32_e32 v72, vcc_hi, v4
	v_xor_b32_e32 v4, vcc_lo, v4
	v_and_b32_e32 v71, v71, v4
	v_lshlrev_b32_e32 v4, 27, v5
	v_cmp_gt_i64_e32 vcc, 0, v[3:4]
	v_not_b32_e32 v4, v4
	;; [unrolled: 8-line block ×5, first 2 shown]
	v_ashrrev_i32_e32 v3, 31, v3
	v_xor_b32_e32 v4, vcc_hi, v3
	v_xor_b32_e32 v3, vcc_lo, v3
	ds_read_b32 v68, v69 offset:16
	v_and_b32_e32 v70, v70, v72
	v_and_b32_e32 v3, v71, v3
	;; [unrolled: 1-line block ×3, first 2 shown]
	v_mbcnt_lo_u32_b32 v5, v3, 0
	v_mbcnt_hi_u32_b32 v70, v4, v5
	v_cmp_ne_u64_e32 vcc, 0, v[3:4]
	v_cmp_eq_u32_e64 s[40:41], 0, v70
	s_and_b64 s[42:43], vcc, s[40:41]
	; wave barrier
	s_and_saveexec_b64 s[40:41], s[42:43]
	s_cbranch_execz .LBB14_65
; %bb.64:
	v_bcnt_u32_b32 v3, v3, 0
	v_bcnt_u32_b32 v3, v4, v3
	s_waitcnt lgkmcnt(0)
	v_add_u32_e32 v3, v68, v3
	ds_write_b32 v69, v3 offset:16
.LBB14_65:
	s_or_b64 exec, exec, s[40:41]
	v_lshrrev_b32_e32 v3, s92, v26
	v_and_b32_e32 v5, s94, v3
	v_mul_lo_u32 v3, v5, 20
	v_and_b32_e32 v4, 1, v5
	v_add_co_u32_e32 v73, vcc, -1, v4
	v_addc_co_u32_e64 v74, s[40:41], 0, -1, vcc
	v_cmp_ne_u32_e32 vcc, 0, v4
	v_xor_b32_e32 v4, vcc_hi, v74
	v_lshl_add_u32 v72, v6, 2, v3
	v_mov_b32_e32 v3, 0
	v_and_b32_e32 v74, exec_hi, v4
	v_lshlrev_b32_e32 v4, 30, v5
	v_xor_b32_e32 v73, vcc_lo, v73
	v_cmp_gt_i64_e32 vcc, 0, v[3:4]
	v_not_b32_e32 v4, v4
	v_ashrrev_i32_e32 v4, 31, v4
	v_and_b32_e32 v73, exec_lo, v73
	v_xor_b32_e32 v75, vcc_hi, v4
	v_xor_b32_e32 v4, vcc_lo, v4
	v_and_b32_e32 v73, v73, v4
	v_lshlrev_b32_e32 v4, 29, v5
	v_cmp_gt_i64_e32 vcc, 0, v[3:4]
	v_not_b32_e32 v4, v4
	v_ashrrev_i32_e32 v4, 31, v4
	v_and_b32_e32 v74, v74, v75
	v_xor_b32_e32 v75, vcc_hi, v4
	v_xor_b32_e32 v4, vcc_lo, v4
	v_and_b32_e32 v73, v73, v4
	v_lshlrev_b32_e32 v4, 28, v5
	v_cmp_gt_i64_e32 vcc, 0, v[3:4]
	v_not_b32_e32 v4, v4
	v_ashrrev_i32_e32 v4, 31, v4
	v_and_b32_e32 v74, v74, v75
	v_xor_b32_e32 v75, vcc_hi, v4
	v_xor_b32_e32 v4, vcc_lo, v4
	v_and_b32_e32 v73, v73, v4
	v_lshlrev_b32_e32 v4, 27, v5
	v_cmp_gt_i64_e32 vcc, 0, v[3:4]
	v_not_b32_e32 v4, v4
	v_ashrrev_i32_e32 v4, 31, v4
	v_and_b32_e32 v74, v74, v75
	v_xor_b32_e32 v75, vcc_hi, v4
	v_xor_b32_e32 v4, vcc_lo, v4
	v_and_b32_e32 v73, v73, v4
	v_lshlrev_b32_e32 v4, 26, v5
	v_cmp_gt_i64_e32 vcc, 0, v[3:4]
	v_not_b32_e32 v4, v4
	v_ashrrev_i32_e32 v4, 31, v4
	v_and_b32_e32 v74, v74, v75
	v_xor_b32_e32 v75, vcc_hi, v4
	v_xor_b32_e32 v4, vcc_lo, v4
	v_and_b32_e32 v73, v73, v4
	v_lshlrev_b32_e32 v4, 25, v5
	v_cmp_gt_i64_e32 vcc, 0, v[3:4]
	v_not_b32_e32 v4, v4
	v_ashrrev_i32_e32 v4, 31, v4
	v_and_b32_e32 v74, v74, v75
	v_xor_b32_e32 v75, vcc_hi, v4
	v_xor_b32_e32 v4, vcc_lo, v4
	v_and_b32_e32 v73, v73, v4
	v_lshlrev_b32_e32 v4, 24, v5
	v_cmp_gt_i64_e32 vcc, 0, v[3:4]
	v_not_b32_e32 v4, v4
	v_ashrrev_i32_e32 v4, 31, v4
	v_xor_b32_e32 v5, vcc_hi, v4
	v_xor_b32_e32 v4, vcc_lo, v4
	; wave barrier
	ds_read_b32 v71, v72 offset:16
	v_and_b32_e32 v74, v74, v75
	v_and_b32_e32 v4, v73, v4
	;; [unrolled: 1-line block ×3, first 2 shown]
	v_mbcnt_lo_u32_b32 v73, v4, 0
	v_mbcnt_hi_u32_b32 v73, v5, v73
	v_cmp_ne_u64_e32 vcc, 0, v[4:5]
	v_cmp_eq_u32_e64 s[40:41], 0, v73
	s_and_b64 s[42:43], vcc, s[40:41]
	; wave barrier
	s_and_saveexec_b64 s[40:41], s[42:43]
	s_cbranch_execz .LBB14_67
; %bb.66:
	v_bcnt_u32_b32 v4, v4, 0
	v_bcnt_u32_b32 v4, v5, v4
	s_waitcnt lgkmcnt(0)
	v_add_u32_e32 v4, v71, v4
	ds_write_b32 v72, v4 offset:16
.LBB14_67:
	s_or_b64 exec, exec, s[40:41]
	v_lshrrev_b32_e32 v4, s92, v25
	v_and_b32_e32 v5, s94, v4
	v_mul_lo_u32 v4, v5, 20
	v_and_b32_e32 v76, 1, v5
	; wave barrier
	v_lshl_add_u32 v75, v6, 2, v4
	v_add_co_u32_e32 v4, vcc, -1, v76
	v_addc_co_u32_e64 v77, s[40:41], 0, -1, vcc
	v_cmp_ne_u32_e32 vcc, 0, v76
	v_xor_b32_e32 v4, vcc_lo, v4
	v_xor_b32_e32 v76, vcc_hi, v77
	v_and_b32_e32 v77, exec_lo, v4
	v_lshlrev_b32_e32 v4, 30, v5
	v_cmp_gt_i64_e32 vcc, 0, v[3:4]
	v_not_b32_e32 v4, v4
	v_ashrrev_i32_e32 v4, 31, v4
	v_xor_b32_e32 v78, vcc_hi, v4
	v_xor_b32_e32 v4, vcc_lo, v4
	v_and_b32_e32 v77, v77, v4
	v_lshlrev_b32_e32 v4, 29, v5
	v_cmp_gt_i64_e32 vcc, 0, v[3:4]
	v_not_b32_e32 v4, v4
	v_and_b32_e32 v76, exec_hi, v76
	v_ashrrev_i32_e32 v4, 31, v4
	v_and_b32_e32 v76, v76, v78
	v_xor_b32_e32 v78, vcc_hi, v4
	v_xor_b32_e32 v4, vcc_lo, v4
	v_and_b32_e32 v77, v77, v4
	v_lshlrev_b32_e32 v4, 28, v5
	v_cmp_gt_i64_e32 vcc, 0, v[3:4]
	v_not_b32_e32 v4, v4
	v_ashrrev_i32_e32 v4, 31, v4
	v_and_b32_e32 v76, v76, v78
	v_xor_b32_e32 v78, vcc_hi, v4
	v_xor_b32_e32 v4, vcc_lo, v4
	v_and_b32_e32 v77, v77, v4
	v_lshlrev_b32_e32 v4, 27, v5
	v_cmp_gt_i64_e32 vcc, 0, v[3:4]
	v_not_b32_e32 v4, v4
	v_ashrrev_i32_e32 v4, 31, v4
	v_and_b32_e32 v76, v76, v78
	v_xor_b32_e32 v78, vcc_hi, v4
	v_xor_b32_e32 v4, vcc_lo, v4
	v_and_b32_e32 v77, v77, v4
	v_lshlrev_b32_e32 v4, 26, v5
	v_cmp_gt_i64_e32 vcc, 0, v[3:4]
	v_not_b32_e32 v4, v4
	v_ashrrev_i32_e32 v4, 31, v4
	v_and_b32_e32 v76, v76, v78
	v_xor_b32_e32 v78, vcc_hi, v4
	v_xor_b32_e32 v4, vcc_lo, v4
	v_and_b32_e32 v77, v77, v4
	v_lshlrev_b32_e32 v4, 25, v5
	v_cmp_gt_i64_e32 vcc, 0, v[3:4]
	v_not_b32_e32 v4, v4
	v_ashrrev_i32_e32 v4, 31, v4
	v_and_b32_e32 v76, v76, v78
	v_xor_b32_e32 v78, vcc_hi, v4
	v_xor_b32_e32 v4, vcc_lo, v4
	v_and_b32_e32 v77, v77, v4
	v_lshlrev_b32_e32 v4, 24, v5
	v_cmp_gt_i64_e32 vcc, 0, v[3:4]
	v_not_b32_e32 v3, v4
	v_ashrrev_i32_e32 v3, 31, v3
	v_xor_b32_e32 v4, vcc_hi, v3
	v_xor_b32_e32 v3, vcc_lo, v3
	ds_read_b32 v74, v75 offset:16
	v_and_b32_e32 v76, v76, v78
	v_and_b32_e32 v3, v77, v3
	;; [unrolled: 1-line block ×3, first 2 shown]
	v_mbcnt_lo_u32_b32 v5, v3, 0
	v_mbcnt_hi_u32_b32 v76, v4, v5
	v_cmp_ne_u64_e32 vcc, 0, v[3:4]
	v_cmp_eq_u32_e64 s[40:41], 0, v76
	s_and_b64 s[42:43], vcc, s[40:41]
	; wave barrier
	s_and_saveexec_b64 s[40:41], s[42:43]
	s_cbranch_execz .LBB14_69
; %bb.68:
	v_bcnt_u32_b32 v3, v3, 0
	v_bcnt_u32_b32 v3, v4, v3
	s_waitcnt lgkmcnt(0)
	v_add_u32_e32 v3, v74, v3
	ds_write_b32 v75, v3 offset:16
.LBB14_69:
	s_or_b64 exec, exec, s[40:41]
	v_lshrrev_b32_e32 v3, s92, v28
	v_and_b32_e32 v5, s94, v3
	v_mul_lo_u32 v3, v5, 20
	v_and_b32_e32 v4, 1, v5
	v_add_co_u32_e32 v79, vcc, -1, v4
	v_addc_co_u32_e64 v80, s[40:41], 0, -1, vcc
	v_cmp_ne_u32_e32 vcc, 0, v4
	v_xor_b32_e32 v4, vcc_hi, v80
	v_lshl_add_u32 v78, v6, 2, v3
	v_mov_b32_e32 v3, 0
	v_and_b32_e32 v80, exec_hi, v4
	v_lshlrev_b32_e32 v4, 30, v5
	v_xor_b32_e32 v79, vcc_lo, v79
	v_cmp_gt_i64_e32 vcc, 0, v[3:4]
	v_not_b32_e32 v4, v4
	v_ashrrev_i32_e32 v4, 31, v4
	v_and_b32_e32 v79, exec_lo, v79
	v_xor_b32_e32 v81, vcc_hi, v4
	v_xor_b32_e32 v4, vcc_lo, v4
	v_and_b32_e32 v79, v79, v4
	v_lshlrev_b32_e32 v4, 29, v5
	v_cmp_gt_i64_e32 vcc, 0, v[3:4]
	v_not_b32_e32 v4, v4
	v_ashrrev_i32_e32 v4, 31, v4
	v_and_b32_e32 v80, v80, v81
	v_xor_b32_e32 v81, vcc_hi, v4
	v_xor_b32_e32 v4, vcc_lo, v4
	v_and_b32_e32 v79, v79, v4
	v_lshlrev_b32_e32 v4, 28, v5
	v_cmp_gt_i64_e32 vcc, 0, v[3:4]
	v_not_b32_e32 v4, v4
	v_ashrrev_i32_e32 v4, 31, v4
	v_and_b32_e32 v80, v80, v81
	;; [unrolled: 8-line block ×5, first 2 shown]
	v_xor_b32_e32 v81, vcc_hi, v4
	v_xor_b32_e32 v4, vcc_lo, v4
	v_and_b32_e32 v79, v79, v4
	v_lshlrev_b32_e32 v4, 24, v5
	v_cmp_gt_i64_e32 vcc, 0, v[3:4]
	v_not_b32_e32 v4, v4
	v_ashrrev_i32_e32 v4, 31, v4
	v_xor_b32_e32 v5, vcc_hi, v4
	v_xor_b32_e32 v4, vcc_lo, v4
	; wave barrier
	ds_read_b32 v77, v78 offset:16
	v_and_b32_e32 v80, v80, v81
	v_and_b32_e32 v4, v79, v4
	;; [unrolled: 1-line block ×3, first 2 shown]
	v_mbcnt_lo_u32_b32 v79, v4, 0
	v_mbcnt_hi_u32_b32 v79, v5, v79
	v_cmp_ne_u64_e32 vcc, 0, v[4:5]
	v_cmp_eq_u32_e64 s[40:41], 0, v79
	s_and_b64 s[42:43], vcc, s[40:41]
	; wave barrier
	s_and_saveexec_b64 s[40:41], s[42:43]
	s_cbranch_execz .LBB14_71
; %bb.70:
	v_bcnt_u32_b32 v4, v4, 0
	v_bcnt_u32_b32 v4, v5, v4
	s_waitcnt lgkmcnt(0)
	v_add_u32_e32 v4, v77, v4
	ds_write_b32 v78, v4 offset:16
.LBB14_71:
	s_or_b64 exec, exec, s[40:41]
	v_lshrrev_b32_e32 v4, s92, v27
	v_and_b32_e32 v5, s94, v4
	v_mul_lo_u32 v4, v5, 20
	v_and_b32_e32 v82, 1, v5
	; wave barrier
	v_lshl_add_u32 v81, v6, 2, v4
	v_add_co_u32_e32 v4, vcc, -1, v82
	v_addc_co_u32_e64 v6, s[40:41], 0, -1, vcc
	v_cmp_ne_u32_e32 vcc, 0, v82
	v_xor_b32_e32 v4, vcc_lo, v4
	v_and_b32_e32 v82, exec_lo, v4
	v_lshlrev_b32_e32 v4, 30, v5
	v_xor_b32_e32 v6, vcc_hi, v6
	v_cmp_gt_i64_e32 vcc, 0, v[3:4]
	v_not_b32_e32 v4, v4
	v_ashrrev_i32_e32 v4, 31, v4
	v_xor_b32_e32 v83, vcc_hi, v4
	v_xor_b32_e32 v4, vcc_lo, v4
	v_and_b32_e32 v82, v82, v4
	v_lshlrev_b32_e32 v4, 29, v5
	v_cmp_gt_i64_e32 vcc, 0, v[3:4]
	v_not_b32_e32 v4, v4
	v_and_b32_e32 v6, exec_hi, v6
	v_ashrrev_i32_e32 v4, 31, v4
	v_and_b32_e32 v6, v6, v83
	v_xor_b32_e32 v83, vcc_hi, v4
	v_xor_b32_e32 v4, vcc_lo, v4
	v_and_b32_e32 v82, v82, v4
	v_lshlrev_b32_e32 v4, 28, v5
	v_cmp_gt_i64_e32 vcc, 0, v[3:4]
	v_not_b32_e32 v4, v4
	v_ashrrev_i32_e32 v4, 31, v4
	v_and_b32_e32 v6, v6, v83
	v_xor_b32_e32 v83, vcc_hi, v4
	v_xor_b32_e32 v4, vcc_lo, v4
	v_and_b32_e32 v82, v82, v4
	v_lshlrev_b32_e32 v4, 27, v5
	v_cmp_gt_i64_e32 vcc, 0, v[3:4]
	v_not_b32_e32 v4, v4
	;; [unrolled: 8-line block ×5, first 2 shown]
	v_ashrrev_i32_e32 v3, 31, v3
	v_xor_b32_e32 v4, vcc_hi, v3
	v_xor_b32_e32 v3, vcc_lo, v3
	ds_read_b32 v80, v81 offset:16
	v_and_b32_e32 v6, v6, v83
	v_and_b32_e32 v3, v82, v3
	;; [unrolled: 1-line block ×3, first 2 shown]
	v_mbcnt_lo_u32_b32 v5, v3, 0
	v_mbcnt_hi_u32_b32 v82, v4, v5
	v_cmp_ne_u64_e32 vcc, 0, v[3:4]
	v_cmp_eq_u32_e64 s[40:41], 0, v82
	s_and_b64 s[42:43], vcc, s[40:41]
	; wave barrier
	s_and_saveexec_b64 s[40:41], s[42:43]
	s_cbranch_execz .LBB14_73
; %bb.72:
	v_bcnt_u32_b32 v3, v3, 0
	v_bcnt_u32_b32 v3, v4, v3
	s_waitcnt lgkmcnt(0)
	v_add_u32_e32 v3, v80, v3
	ds_write_b32 v81, v3 offset:16
.LBB14_73:
	s_or_b64 exec, exec, s[40:41]
	; wave barrier
	s_waitcnt lgkmcnt(0)
	s_barrier
	ds_read2_b32 v[5:6], v29 offset0:4 offset1:5
	ds_read2_b32 v[3:4], v29 offset0:6 offset1:7
	ds_read_b32 v83, v29 offset:32
	v_min_u32_e32 v20, 0xc0, v20
	v_or_b32_e32 v20, 63, v20
	s_waitcnt lgkmcnt(1)
	v_add3_u32 v84, v6, v5, v3
	s_waitcnt lgkmcnt(0)
	v_add3_u32 v83, v84, v4, v83
	v_and_b32_e32 v84, 15, v11
	v_cmp_ne_u32_e32 vcc, 0, v84
	v_mov_b32_dpp v85, v83 row_shr:1 row_mask:0xf bank_mask:0xf
	v_cndmask_b32_e32 v85, 0, v85, vcc
	v_add_u32_e32 v83, v85, v83
	v_cmp_lt_u32_e32 vcc, 1, v84
	s_nop 0
	v_mov_b32_dpp v85, v83 row_shr:2 row_mask:0xf bank_mask:0xf
	v_cndmask_b32_e32 v85, 0, v85, vcc
	v_add_u32_e32 v83, v83, v85
	v_cmp_lt_u32_e32 vcc, 3, v84
	s_nop 0
	;; [unrolled: 5-line block ×3, first 2 shown]
	v_mov_b32_dpp v85, v83 row_shr:8 row_mask:0xf bank_mask:0xf
	v_cndmask_b32_e32 v84, 0, v85, vcc
	v_add_u32_e32 v83, v83, v84
	v_bfe_i32 v85, v11, 4, 1
	v_cmp_lt_u32_e32 vcc, 31, v11
	v_mov_b32_dpp v84, v83 row_bcast:15 row_mask:0xf bank_mask:0xf
	v_and_b32_e32 v84, v85, v84
	v_add_u32_e32 v83, v83, v84
	s_nop 1
	v_mov_b32_dpp v84, v83 row_bcast:31 row_mask:0xf bank_mask:0xf
	v_cndmask_b32_e32 v84, 0, v84, vcc
	v_add_u32_e32 v83, v83, v84
	v_lshrrev_b32_e32 v84, 6, v0
	v_cmp_eq_u32_e32 vcc, v0, v20
	s_and_saveexec_b64 s[40:41], vcc
; %bb.74:
	v_lshlrev_b32_e32 v20, 2, v84
	ds_write_b32 v20, v83
; %bb.75:
	s_or_b64 exec, exec, s[40:41]
	v_cmp_gt_u32_e32 vcc, 4, v0
	s_waitcnt lgkmcnt(0)
	s_barrier
	s_and_saveexec_b64 s[40:41], vcc
	s_cbranch_execz .LBB14_77
; %bb.76:
	v_lshlrev_b32_e32 v20, 2, v0
	ds_read_b32 v85, v20
	v_and_b32_e32 v86, 3, v11
	v_cmp_ne_u32_e32 vcc, 0, v86
	s_waitcnt lgkmcnt(0)
	v_mov_b32_dpp v87, v85 row_shr:1 row_mask:0xf bank_mask:0xf
	v_cndmask_b32_e32 v87, 0, v87, vcc
	v_add_u32_e32 v85, v87, v85
	v_cmp_lt_u32_e32 vcc, 1, v86
	s_nop 0
	v_mov_b32_dpp v87, v85 row_shr:2 row_mask:0xf bank_mask:0xf
	v_cndmask_b32_e32 v86, 0, v87, vcc
	v_add_u32_e32 v85, v85, v86
	ds_write_b32 v20, v85
.LBB14_77:
	s_or_b64 exec, exec, s[40:41]
	v_cmp_lt_u32_e32 vcc, 63, v0
	v_mov_b32_e32 v20, 0
	s_waitcnt lgkmcnt(0)
	s_barrier
	s_and_saveexec_b64 s[40:41], vcc
; %bb.78:
	v_lshl_add_u32 v20, v84, 2, -4
	ds_read_b32 v20, v20
; %bb.79:
	s_or_b64 exec, exec, s[40:41]
	v_add_u32_e32 v84, -1, v11
	v_and_b32_e32 v85, 64, v11
	v_cmp_lt_i32_e32 vcc, v84, v85
	v_cndmask_b32_e32 v84, v84, v11, vcc
	s_waitcnt lgkmcnt(0)
	v_add_u32_e32 v83, v20, v83
	v_lshlrev_b32_e32 v84, 2, v84
	ds_bpermute_b32 v83, v84, v83
	v_cmp_eq_u32_e32 vcc, 0, v11
	s_movk_i32 s40, 0x100
	s_waitcnt lgkmcnt(0)
	v_cndmask_b32_e32 v20, v83, v20, vcc
	v_cmp_ne_u32_e32 vcc, 0, v0
	v_cndmask_b32_e32 v20, 0, v20, vcc
	v_add_u32_e32 v5, v20, v5
	v_add_u32_e32 v6, v5, v6
	;; [unrolled: 1-line block ×4, first 2 shown]
	ds_write2_b32 v29, v20, v5 offset0:4 offset1:5
	ds_write2_b32 v29, v6, v3 offset0:6 offset1:7
	ds_write_b32 v29, v4 offset:32
	s_waitcnt lgkmcnt(0)
	s_barrier
	ds_read_b32 v4, v51 offset:16
	ds_read_b32 v5, v54 offset:16
	;; [unrolled: 1-line block ×19, first 2 shown]
	v_add_u32_e32 v29, 1, v0
	v_cmp_ne_u32_e32 vcc, s40, v29
	v_mov_b32_e32 v3, 0x1200
	s_and_saveexec_b64 s[40:41], vcc
; %bb.80:
	v_mul_u32_u24_e32 v3, 20, v29
	ds_read_b32 v3, v3 offset:16
; %bb.81:
	s_or_b64 exec, exec, s[40:41]
	s_waitcnt lgkmcnt(7)
	v_add_u32_e32 v54, v31, v30
	s_waitcnt lgkmcnt(6)
	v_add3_u32 v51, v34, v32, v33
	s_waitcnt lgkmcnt(4)
	v_add3_u32 v45, v40, v38, v39
	v_add3_u32 v39, v52, v50, v4
	v_lshlrev_b32_e32 v4, 2, v54
	v_add3_u32 v48, v37, v35, v36
	s_waitcnt lgkmcnt(0)
	s_barrier
	ds_write_b32 v4, v8 offset:2048
	v_lshlrev_b32_e32 v4, 2, v51
	ds_write_b32 v4, v7 offset:2048
	v_lshlrev_b32_e32 v4, 2, v48
	v_add3_u32 v42, v43, v41, v42
	ds_write_b32 v4, v13 offset:2048
	v_lshlrev_b32_e32 v4, 2, v45
	v_add3_u32 v41, v46, v44, v81
	;; [unrolled: 3-line block ×3, first 2 shown]
	ds_write_b32 v4, v15 offset:2048
	v_lshlrev_b32_e32 v4, 2, v41
	ds_write_b32 v4, v14 offset:2048
	v_lshlrev_b32_e32 v4, 2, v40
	v_add3_u32 v38, v55, v53, v5
	ds_write_b32 v4, v17 offset:2048
	v_lshlrev_b32_e32 v4, 2, v39
	v_add3_u32 v37, v58, v56, v6
	;; [unrolled: 3-line block ×10, first 2 shown]
	ds_write_b32 v4, v25 offset:2048
	v_lshlrev_b32_e32 v4, 2, v30
	ds_write_b32 v4, v28 offset:2048
	v_lshlrev_b32_e32 v4, 2, v29
	ds_write_b32 v4, v27 offset:2048
	v_sub_u32_e32 v12, v3, v20
	v_lshl_or_b32 v3, s6, 8, v0
	v_mov_b32_e32 v4, 0
	v_lshlrev_b64 v[5:6], 2, v[3:4]
	v_mov_b32_e32 v13, s89
	v_add_co_u32_e32 v5, vcc, s88, v5
	v_addc_co_u32_e32 v6, vcc, v13, v6, vcc
	v_or_b32_e32 v3, 2.0, v12
	s_mov_b64 s[40:41], 0
	s_brev_b32 s46, -4
	s_mov_b32 s47, s7
	v_mov_b32_e32 v14, 0
	s_waitcnt lgkmcnt(0)
	s_barrier
	global_store_dword v[5:6], v3, off
                                        ; implicit-def: $sgpr42_sgpr43
	s_branch .LBB14_84
.LBB14_82:                              ;   in Loop: Header=BB14_84 Depth=1
	s_or_b64 exec, exec, s[44:45]
.LBB14_83:                              ;   in Loop: Header=BB14_84 Depth=1
	s_or_b64 exec, exec, s[42:43]
	v_and_b32_e32 v7, 0x3fffffff, v3
	v_add_u32_e32 v14, v7, v14
	v_cmp_gt_i32_e64 s[42:43], -2.0, v3
	s_and_b64 s[44:45], exec, s[42:43]
	s_or_b64 s[40:41], s[44:45], s[40:41]
	s_andn2_b64 exec, exec, s[40:41]
	s_cbranch_execz .LBB14_89
.LBB14_84:                              ; =>This Loop Header: Depth=1
                                        ;     Child Loop BB14_87 Depth 2
	s_or_b64 s[42:43], s[42:43], exec
	s_cmp_eq_u32 s47, 0
	s_cbranch_scc1 .LBB14_88
; %bb.85:                               ;   in Loop: Header=BB14_84 Depth=1
	s_add_i32 s47, s47, -1
	v_lshl_or_b32 v3, s47, 8, v0
	v_lshlrev_b64 v[7:8], 2, v[3:4]
	v_add_co_u32_e32 v7, vcc, s88, v7
	v_addc_co_u32_e32 v8, vcc, v13, v8, vcc
	global_load_dword v3, v[7:8], off glc
	s_waitcnt vmcnt(0)
	v_cmp_gt_u32_e32 vcc, 2.0, v3
	s_and_saveexec_b64 s[42:43], vcc
	s_cbranch_execz .LBB14_83
; %bb.86:                               ;   in Loop: Header=BB14_84 Depth=1
	s_mov_b64 s[44:45], 0
.LBB14_87:                              ;   Parent Loop BB14_84 Depth=1
                                        ; =>  This Inner Loop Header: Depth=2
	global_load_dword v3, v[7:8], off glc
	s_waitcnt vmcnt(0)
	v_cmp_lt_u32_e32 vcc, s46, v3
	s_or_b64 s[44:45], vcc, s[44:45]
	s_andn2_b64 exec, exec, s[44:45]
	s_cbranch_execnz .LBB14_87
	s_branch .LBB14_82
.LBB14_88:                              ;   in Loop: Header=BB14_84 Depth=1
                                        ; implicit-def: $sgpr47
	s_and_b64 s[44:45], exec, s[42:43]
	s_or_b64 s[40:41], s[44:45], s[40:41]
	s_andn2_b64 exec, exec, s[40:41]
	s_cbranch_execnz .LBB14_84
.LBB14_89:
	s_or_b64 exec, exec, s[40:41]
	s_load_dwordx4 s[40:43], s[4:5], 0x28
	v_add_u32_e32 v3, v14, v12
	v_or_b32_e32 v3, 0x80000000, v3
	v_lshlrev_b32_e32 v7, 3, v0
	global_store_dword v[5:6], v3, off
	s_waitcnt lgkmcnt(0)
	global_load_dwordx2 v[3:4], v7, s[40:41]
	v_sub_co_u32_e32 v5, vcc, v14, v20
	v_subb_co_u32_e64 v6, s[40:41], 0, 0, vcc
	s_waitcnt vmcnt(0)
	v_add_co_u32_e32 v3, vcc, v5, v3
	v_addc_co_u32_e32 v4, vcc, v6, v4, vcc
	v_cmp_gt_u32_e32 vcc, s90, v0
	ds_write_b64 v7, v[3:4]
	s_waitcnt lgkmcnt(0)
	s_barrier
	s_and_saveexec_b64 s[42:43], vcc
	s_cbranch_execz .LBB14_91
; %bb.90:
	v_lshlrev_b32_e32 v5, 2, v0
	v_sub_u32_e32 v3, v7, v5
	ds_read_b32 v6, v3 offset:2048
	v_mov_b32_e32 v8, s83
	s_waitcnt lgkmcnt(0)
	v_lshrrev_b32_e32 v3, s92, v6
	v_and_b32_e32 v3, s94, v3
	v_lshlrev_b32_e32 v3, 3, v3
	ds_read_b64 v[3:4], v3
	v_xor_b32_e32 v6, 0x7fffffff, v6
	s_waitcnt lgkmcnt(0)
	v_lshlrev_b64 v[3:4], 2, v[3:4]
	v_add_co_u32_e64 v3, s[40:41], s82, v3
	v_addc_co_u32_e64 v4, s[40:41], v8, v4, s[40:41]
	v_add_co_u32_e64 v3, s[40:41], v3, v5
	v_addc_co_u32_e64 v4, s[40:41], 0, v4, s[40:41]
	global_store_dword v[3:4], v6, off
.LBB14_91:
	s_or_b64 exec, exec, s[42:43]
	v_or_b32_e32 v3, 0x100, v0
	v_cmp_gt_u32_e64 s[40:41], s90, v3
	s_and_saveexec_b64 s[44:45], s[40:41]
	s_cbranch_execz .LBB14_93
; %bb.92:
	v_lshlrev_b32_e32 v5, 2, v0
	v_sub_u32_e32 v3, v7, v5
	ds_read_b32 v6, v3 offset:3072
	v_mov_b32_e32 v8, s83
	s_waitcnt lgkmcnt(0)
	v_lshrrev_b32_e32 v3, s92, v6
	v_and_b32_e32 v3, s94, v3
	v_lshlrev_b32_e32 v3, 3, v3
	ds_read_b64 v[3:4], v3
	v_xor_b32_e32 v6, 0x7fffffff, v6
	s_waitcnt lgkmcnt(0)
	v_lshlrev_b64 v[3:4], 2, v[3:4]
	v_add_co_u32_e64 v3, s[42:43], s82, v3
	v_addc_co_u32_e64 v4, s[42:43], v8, v4, s[42:43]
	v_add_co_u32_e64 v3, s[42:43], v3, v5
	v_addc_co_u32_e64 v4, s[42:43], 0, v4, s[42:43]
	global_store_dword v[3:4], v6, off offset:1024
.LBB14_93:
	s_or_b64 exec, exec, s[44:45]
	v_or_b32_e32 v3, 0x200, v0
	v_cmp_gt_u32_e64 s[42:43], s90, v3
	s_and_saveexec_b64 s[46:47], s[42:43]
	s_cbranch_execz .LBB14_95
; %bb.94:
	v_lshlrev_b32_e32 v5, 2, v0
	v_sub_u32_e32 v3, v7, v5
	ds_read_b32 v6, v3 offset:4096
	v_mov_b32_e32 v8, s83
	s_waitcnt lgkmcnt(0)
	v_lshrrev_b32_e32 v3, s92, v6
	v_and_b32_e32 v3, s94, v3
	v_lshlrev_b32_e32 v3, 3, v3
	ds_read_b64 v[3:4], v3
	v_xor_b32_e32 v6, 0x7fffffff, v6
	s_waitcnt lgkmcnt(0)
	v_lshlrev_b64 v[3:4], 2, v[3:4]
	v_add_co_u32_e64 v3, s[44:45], s82, v3
	v_addc_co_u32_e64 v4, s[44:45], v8, v4, s[44:45]
	v_add_co_u32_e64 v3, s[44:45], v3, v5
	v_addc_co_u32_e64 v4, s[44:45], 0, v4, s[44:45]
	global_store_dword v[3:4], v6, off offset:2048
.LBB14_95:
	;; [unrolled: 24-line block ×3, first 2 shown]
	s_or_b64 exec, exec, s[48:49]
	v_or_b32_e32 v3, 0x400, v0
	v_cmp_gt_u32_e64 s[46:47], s90, v3
	s_and_saveexec_b64 s[50:51], s[46:47]
	s_cbranch_execz .LBB14_99
; %bb.98:
	v_lshlrev_b32_e32 v4, 2, v0
	v_sub_u32_e32 v4, v7, v4
	ds_read_b32 v6, v4 offset:6144
	v_lshlrev_b32_e32 v13, 2, v3
	v_mov_b32_e32 v8, s83
	s_waitcnt lgkmcnt(0)
	v_lshrrev_b32_e32 v4, s92, v6
	v_and_b32_e32 v4, s94, v4
	v_lshlrev_b32_e32 v4, 3, v4
	ds_read_b64 v[4:5], v4
	v_xor_b32_e32 v6, 0x7fffffff, v6
	s_waitcnt lgkmcnt(0)
	v_lshlrev_b64 v[3:4], 2, v[4:5]
	v_add_co_u32_e64 v3, s[48:49], s82, v3
	v_addc_co_u32_e64 v4, s[48:49], v8, v4, s[48:49]
	v_add_co_u32_e64 v3, s[48:49], v3, v13
	v_addc_co_u32_e64 v4, s[48:49], 0, v4, s[48:49]
	global_store_dword v[3:4], v6, off
.LBB14_99:
	s_or_b64 exec, exec, s[50:51]
	v_or_b32_e32 v3, 0x500, v0
	v_cmp_gt_u32_e64 s[48:49], s90, v3
	s_and_saveexec_b64 s[52:53], s[48:49]
	s_cbranch_execz .LBB14_101
; %bb.100:
	v_lshlrev_b32_e32 v4, 2, v0
	v_sub_u32_e32 v4, v7, v4
	ds_read_b32 v6, v4 offset:7168
	v_lshlrev_b32_e32 v13, 2, v3
	v_mov_b32_e32 v8, s83
	s_waitcnt lgkmcnt(0)
	v_lshrrev_b32_e32 v4, s92, v6
	v_and_b32_e32 v4, s94, v4
	v_lshlrev_b32_e32 v4, 3, v4
	ds_read_b64 v[4:5], v4
	v_xor_b32_e32 v6, 0x7fffffff, v6
	s_waitcnt lgkmcnt(0)
	v_lshlrev_b64 v[3:4], 2, v[4:5]
	v_add_co_u32_e64 v3, s[50:51], s82, v3
	v_addc_co_u32_e64 v4, s[50:51], v8, v4, s[50:51]
	v_add_co_u32_e64 v3, s[50:51], v3, v13
	v_addc_co_u32_e64 v4, s[50:51], 0, v4, s[50:51]
	global_store_dword v[3:4], v6, off
.LBB14_101:
	;; [unrolled: 25-line block ×3, first 2 shown]
	s_or_b64 exec, exec, s[54:55]
	v_or_b32_e32 v3, 0x700, v0
	v_cmp_gt_u32_e64 s[52:53], s90, v3
	s_and_saveexec_b64 s[56:57], s[52:53]
	s_cbranch_execz .LBB14_105
; %bb.104:
	v_lshlrev_b32_e32 v4, 2, v0
	ds_read_b32 v6, v4 offset:9216
	v_lshlrev_b32_e32 v13, 2, v3
	v_mov_b32_e32 v8, s83
	s_waitcnt lgkmcnt(0)
	v_lshrrev_b32_e32 v4, s92, v6
	v_and_b32_e32 v4, s94, v4
	v_lshlrev_b32_e32 v4, 3, v4
	ds_read_b64 v[4:5], v4
	v_xor_b32_e32 v6, 0x7fffffff, v6
	s_waitcnt lgkmcnt(0)
	v_lshlrev_b64 v[3:4], 2, v[4:5]
	v_add_co_u32_e64 v3, s[54:55], s82, v3
	v_addc_co_u32_e64 v4, s[54:55], v8, v4, s[54:55]
	v_add_co_u32_e64 v3, s[54:55], v3, v13
	v_addc_co_u32_e64 v4, s[54:55], 0, v4, s[54:55]
	global_store_dword v[3:4], v6, off
.LBB14_105:
	s_or_b64 exec, exec, s[56:57]
	v_or_b32_e32 v5, 0x800, v0
	v_cmp_gt_u32_e64 s[54:55], s90, v5
	s_and_saveexec_b64 s[58:59], s[54:55]
	s_cbranch_execz .LBB14_107
; %bb.106:
	v_lshlrev_b32_e32 v3, 2, v0
	ds_read_b32 v6, v3 offset:10240
	v_mov_b32_e32 v8, s83
	v_lshlrev_b32_e32 v13, 2, v5
	s_waitcnt lgkmcnt(0)
	v_lshrrev_b32_e32 v3, s92, v6
	v_and_b32_e32 v3, s94, v3
	v_lshlrev_b32_e32 v3, 3, v3
	ds_read_b64 v[3:4], v3
	v_xor_b32_e32 v6, 0x7fffffff, v6
	s_waitcnt lgkmcnt(0)
	v_lshlrev_b64 v[3:4], 2, v[3:4]
	v_add_co_u32_e64 v3, s[56:57], s82, v3
	v_addc_co_u32_e64 v4, s[56:57], v8, v4, s[56:57]
	v_add_co_u32_e64 v3, s[56:57], v3, v13
	v_addc_co_u32_e64 v4, s[56:57], 0, v4, s[56:57]
	global_store_dword v[3:4], v6, off
.LBB14_107:
	s_or_b64 exec, exec, s[58:59]
	v_or_b32_e32 v6, 0x900, v0
	v_cmp_gt_u32_e64 s[56:57], s90, v6
	s_and_saveexec_b64 s[60:61], s[56:57]
	s_cbranch_execz .LBB14_109
; %bb.108:
	v_lshlrev_b32_e32 v3, 2, v0
	ds_read_b32 v8, v3 offset:11264
	v_mov_b32_e32 v13, s83
	v_lshlrev_b32_e32 v14, 2, v6
	s_waitcnt lgkmcnt(0)
	v_lshrrev_b32_e32 v3, s92, v8
	v_and_b32_e32 v3, s94, v3
	v_lshlrev_b32_e32 v3, 3, v3
	ds_read_b64 v[3:4], v3
	v_xor_b32_e32 v8, 0x7fffffff, v8
	s_waitcnt lgkmcnt(0)
	v_lshlrev_b64 v[3:4], 2, v[3:4]
	v_add_co_u32_e64 v3, s[58:59], s82, v3
	v_addc_co_u32_e64 v4, s[58:59], v13, v4, s[58:59]
	v_add_co_u32_e64 v3, s[58:59], v3, v14
	v_addc_co_u32_e64 v4, s[58:59], 0, v4, s[58:59]
	global_store_dword v[3:4], v8, off
.LBB14_109:
	;; [unrolled: 24-line block ×10, first 2 shown]
	s_or_b64 exec, exec, s[90:91]
	s_lshl_b64 s[76:77], s[78:79], 1
	s_add_u32 s76, s84, s76
	s_addc_u32 s77, s85, s77
	v_lshlrev_b32_e32 v3, 1, v11
	v_mov_b32_e32 v4, s77
	v_add_co_u32_e64 v3, s[76:77], s76, v3
	v_addc_co_u32_e64 v4, s[76:77], 0, v4, s[76:77]
	v_lshlrev_b32_e32 v10, 1, v10
	v_add_co_u32_e64 v3, s[76:77], v3, v10
	v_addc_co_u32_e64 v4, s[76:77], 0, v4, s[76:77]
                                        ; implicit-def: $vgpr10
	s_and_saveexec_b64 s[76:77], s[0:1]
	s_xor_b64 s[0:1], exec, s[76:77]
	s_cbranch_execz .LBB14_143
; %bb.126:
	global_load_ushort v10, v[3:4], off
	s_or_b64 exec, exec, s[0:1]
                                        ; implicit-def: $vgpr11
	s_and_saveexec_b64 s[0:1], s[2:3]
	s_cbranch_execnz .LBB14_144
.LBB14_127:
	s_or_b64 exec, exec, s[0:1]
                                        ; implicit-def: $vgpr22
	s_and_saveexec_b64 s[0:1], s[74:75]
	s_cbranch_execz .LBB14_145
.LBB14_128:
	global_load_ushort v22, v[3:4], off offset:256
	s_or_b64 exec, exec, s[0:1]
                                        ; implicit-def: $vgpr24
	s_and_saveexec_b64 s[0:1], s[8:9]
	s_cbranch_execnz .LBB14_146
.LBB14_129:
	s_or_b64 exec, exec, s[0:1]
                                        ; implicit-def: $vgpr26
	s_and_saveexec_b64 s[0:1], s[10:11]
	s_cbranch_execz .LBB14_147
.LBB14_130:
	global_load_ushort v26, v[3:4], off offset:512
	s_or_b64 exec, exec, s[0:1]
                                        ; implicit-def: $vgpr27
	s_and_saveexec_b64 s[0:1], s[12:13]
	s_cbranch_execnz .LBB14_148
.LBB14_131:
	s_or_b64 exec, exec, s[0:1]
                                        ; implicit-def: $vgpr44
	s_and_saveexec_b64 s[0:1], s[14:15]
	s_cbranch_execz .LBB14_149
.LBB14_132:
	global_load_ushort v44, v[3:4], off offset:768
	s_or_b64 exec, exec, s[0:1]
                                        ; implicit-def: $vgpr46
	s_and_saveexec_b64 s[0:1], s[16:17]
	s_cbranch_execnz .LBB14_150
.LBB14_133:
	s_or_b64 exec, exec, s[0:1]
                                        ; implicit-def: $vgpr50
	s_and_saveexec_b64 s[0:1], s[18:19]
	s_cbranch_execz .LBB14_151
.LBB14_134:
	global_load_ushort v50, v[3:4], off offset:1024
	s_or_b64 exec, exec, s[0:1]
                                        ; implicit-def: $vgpr52
	s_and_saveexec_b64 s[0:1], s[20:21]
	s_cbranch_execnz .LBB14_152
.LBB14_135:
	s_or_b64 exec, exec, s[0:1]
                                        ; implicit-def: $vgpr56
	s_and_saveexec_b64 s[0:1], s[22:23]
	s_cbranch_execz .LBB14_153
.LBB14_136:
	global_load_ushort v56, v[3:4], off offset:1280
	s_or_b64 exec, exec, s[0:1]
                                        ; implicit-def: $vgpr57
	s_and_saveexec_b64 s[0:1], s[24:25]
	s_cbranch_execnz .LBB14_154
.LBB14_137:
	s_or_b64 exec, exec, s[0:1]
                                        ; implicit-def: $vgpr60
	s_and_saveexec_b64 s[0:1], s[26:27]
	s_cbranch_execz .LBB14_155
.LBB14_138:
	global_load_ushort v60, v[3:4], off offset:1536
	s_or_b64 exec, exec, s[0:1]
                                        ; implicit-def: $vgpr62
	s_and_saveexec_b64 s[0:1], s[28:29]
	s_cbranch_execnz .LBB14_156
.LBB14_139:
	s_or_b64 exec, exec, s[0:1]
                                        ; implicit-def: $vgpr64
	s_and_saveexec_b64 s[0:1], s[30:31]
	s_cbranch_execz .LBB14_157
.LBB14_140:
	global_load_ushort v64, v[3:4], off offset:1792
	s_or_b64 exec, exec, s[0:1]
                                        ; implicit-def: $vgpr66
	s_and_saveexec_b64 s[0:1], s[34:35]
	s_cbranch_execnz .LBB14_158
.LBB14_141:
	s_or_b64 exec, exec, s[0:1]
                                        ; implicit-def: $vgpr68
	s_and_saveexec_b64 s[0:1], s[36:37]
	s_cbranch_execz .LBB14_159
.LBB14_142:
	global_load_ushort v68, v[3:4], off offset:2048
	s_or_b64 exec, exec, s[0:1]
                                        ; implicit-def: $vgpr69
	s_and_saveexec_b64 s[0:1], s[38:39]
	s_cbranch_execnz .LBB14_160
	s_branch .LBB14_161
.LBB14_143:
	s_or_b64 exec, exec, s[0:1]
                                        ; implicit-def: $vgpr11
	s_and_saveexec_b64 s[0:1], s[2:3]
	s_cbranch_execz .LBB14_127
.LBB14_144:
	global_load_ushort v11, v[3:4], off offset:128
	s_or_b64 exec, exec, s[0:1]
                                        ; implicit-def: $vgpr22
	s_and_saveexec_b64 s[0:1], s[74:75]
	s_cbranch_execnz .LBB14_128
.LBB14_145:
	s_or_b64 exec, exec, s[0:1]
                                        ; implicit-def: $vgpr24
	s_and_saveexec_b64 s[0:1], s[8:9]
	s_cbranch_execz .LBB14_129
.LBB14_146:
	global_load_ushort v24, v[3:4], off offset:384
	s_or_b64 exec, exec, s[0:1]
                                        ; implicit-def: $vgpr26
	s_and_saveexec_b64 s[0:1], s[10:11]
	s_cbranch_execnz .LBB14_130
.LBB14_147:
	s_or_b64 exec, exec, s[0:1]
                                        ; implicit-def: $vgpr27
	s_and_saveexec_b64 s[0:1], s[12:13]
	s_cbranch_execz .LBB14_131
.LBB14_148:
	global_load_ushort v27, v[3:4], off offset:640
	s_or_b64 exec, exec, s[0:1]
                                        ; implicit-def: $vgpr44
	s_and_saveexec_b64 s[0:1], s[14:15]
	s_cbranch_execnz .LBB14_132
.LBB14_149:
	s_or_b64 exec, exec, s[0:1]
                                        ; implicit-def: $vgpr46
	s_and_saveexec_b64 s[0:1], s[16:17]
	s_cbranch_execz .LBB14_133
.LBB14_150:
	global_load_ushort v46, v[3:4], off offset:896
	s_or_b64 exec, exec, s[0:1]
                                        ; implicit-def: $vgpr50
	s_and_saveexec_b64 s[0:1], s[18:19]
	s_cbranch_execnz .LBB14_134
.LBB14_151:
	s_or_b64 exec, exec, s[0:1]
                                        ; implicit-def: $vgpr52
	s_and_saveexec_b64 s[0:1], s[20:21]
	s_cbranch_execz .LBB14_135
.LBB14_152:
	global_load_ushort v52, v[3:4], off offset:1152
	s_or_b64 exec, exec, s[0:1]
                                        ; implicit-def: $vgpr56
	s_and_saveexec_b64 s[0:1], s[22:23]
	s_cbranch_execnz .LBB14_136
.LBB14_153:
	s_or_b64 exec, exec, s[0:1]
                                        ; implicit-def: $vgpr57
	s_and_saveexec_b64 s[0:1], s[24:25]
	s_cbranch_execz .LBB14_137
.LBB14_154:
	global_load_ushort v57, v[3:4], off offset:1408
	s_or_b64 exec, exec, s[0:1]
                                        ; implicit-def: $vgpr60
	s_and_saveexec_b64 s[0:1], s[26:27]
	s_cbranch_execnz .LBB14_138
.LBB14_155:
	s_or_b64 exec, exec, s[0:1]
                                        ; implicit-def: $vgpr62
	s_and_saveexec_b64 s[0:1], s[28:29]
	s_cbranch_execz .LBB14_139
.LBB14_156:
	global_load_ushort v62, v[3:4], off offset:1664
	s_or_b64 exec, exec, s[0:1]
                                        ; implicit-def: $vgpr64
	s_and_saveexec_b64 s[0:1], s[30:31]
	s_cbranch_execnz .LBB14_140
.LBB14_157:
	s_or_b64 exec, exec, s[0:1]
                                        ; implicit-def: $vgpr66
	s_and_saveexec_b64 s[0:1], s[34:35]
	s_cbranch_execz .LBB14_141
.LBB14_158:
	global_load_ushort v66, v[3:4], off offset:1920
	s_or_b64 exec, exec, s[0:1]
                                        ; implicit-def: $vgpr68
	s_and_saveexec_b64 s[0:1], s[36:37]
	s_cbranch_execnz .LBB14_142
.LBB14_159:
	s_or_b64 exec, exec, s[0:1]
                                        ; implicit-def: $vgpr69
	s_and_saveexec_b64 s[0:1], s[38:39]
	s_cbranch_execz .LBB14_161
.LBB14_160:
	global_load_ushort v69, v[3:4], off offset:2176
.LBB14_161:
	s_or_b64 exec, exec, s[0:1]
	v_mov_b32_e32 v65, 0
	v_mov_b32_e32 v70, 0
	s_and_saveexec_b64 s[0:1], vcc
	s_cbranch_execz .LBB14_163
; %bb.162:
	v_lshlrev_b32_e32 v3, 2, v0
	ds_read_b32 v3, v3 offset:2048
	s_waitcnt lgkmcnt(0)
	v_lshrrev_b32_e32 v3, s92, v3
	v_and_b32_e32 v70, s94, v3
.LBB14_163:
	s_or_b64 exec, exec, s[0:1]
	s_and_saveexec_b64 s[0:1], s[40:41]
	s_cbranch_execz .LBB14_165
; %bb.164:
	v_lshlrev_b32_e32 v3, 2, v0
	ds_read_b32 v3, v3 offset:3072
	s_waitcnt lgkmcnt(0)
	v_lshrrev_b32_e32 v3, s92, v3
	v_and_b32_e32 v65, s94, v3
.LBB14_165:
	s_or_b64 exec, exec, s[0:1]
	v_mov_b32_e32 v61, 0
	v_mov_b32_e32 v67, 0
	s_and_saveexec_b64 s[0:1], s[42:43]
	s_cbranch_execz .LBB14_167
; %bb.166:
	v_lshlrev_b32_e32 v3, 2, v0
	ds_read_b32 v3, v3 offset:4096
	s_waitcnt lgkmcnt(0)
	v_lshrrev_b32_e32 v3, s92, v3
	v_and_b32_e32 v67, s94, v3
.LBB14_167:
	s_or_b64 exec, exec, s[0:1]
	s_and_saveexec_b64 s[0:1], s[44:45]
	s_cbranch_execz .LBB14_169
; %bb.168:
	v_lshlrev_b32_e32 v3, 2, v0
	ds_read_b32 v3, v3 offset:5120
	s_waitcnt lgkmcnt(0)
	v_lshrrev_b32_e32 v3, s92, v3
	v_and_b32_e32 v61, s94, v3
.LBB14_169:
	s_or_b64 exec, exec, s[0:1]
	v_mov_b32_e32 v58, 0
	v_mov_b32_e32 v63, 0
	s_and_saveexec_b64 s[0:1], s[46:47]
	;; [unrolled: 22-line block ×8, first 2 shown]
	s_cbranch_execz .LBB14_195
; %bb.194:
	v_lshlrev_b32_e32 v21, 2, v0
	ds_read_b32 v21, v21 offset:18432
	s_waitcnt lgkmcnt(0)
	v_lshrrev_b32_e32 v21, s92, v21
	v_and_b32_e32 v21, s94, v21
.LBB14_195:
	s_or_b64 exec, exec, s[0:1]
	s_and_saveexec_b64 s[0:1], s[72:73]
	s_cbranch_execz .LBB14_197
; %bb.196:
	v_lshlrev_b32_e32 v3, 2, v0
	ds_read_b32 v3, v3 offset:19456
	s_waitcnt lgkmcnt(0)
	v_lshrrev_b32_e32 v3, s92, v3
	v_and_b32_e32 v3, s94, v3
.LBB14_197:
	s_or_b64 exec, exec, s[0:1]
	v_lshlrev_b32_e32 v54, 1, v54
	s_waitcnt vmcnt(0)
	s_barrier
	ds_write_b16 v54, v10 offset:2048
	v_lshlrev_b32_e32 v10, 1, v51
	ds_write_b16 v10, v11 offset:2048
	v_lshlrev_b32_e32 v10, 1, v48
	;; [unrolled: 2-line block ×17, first 2 shown]
	ds_write_b16 v10, v69 offset:2048
	s_waitcnt lgkmcnt(0)
	s_barrier
	s_and_saveexec_b64 s[0:1], vcc
	s_cbranch_execz .LBB14_274
; %bb.198:
	v_lshlrev_b32_e32 v10, 3, v70
	ds_read_b64 v[10:11], v10
	v_lshlrev_b32_e32 v22, 1, v0
	ds_read_u16 v24, v22 offset:2048
	v_mov_b32_e32 v26, s87
	s_waitcnt lgkmcnt(1)
	v_lshlrev_b64 v[10:11], 1, v[10:11]
	v_add_co_u32_e32 v10, vcc, s86, v10
	v_addc_co_u32_e32 v11, vcc, v26, v11, vcc
	v_add_co_u32_e32 v10, vcc, v10, v22
	v_addc_co_u32_e32 v11, vcc, 0, v11, vcc
	s_waitcnt lgkmcnt(0)
	global_store_short v[10:11], v24, off
	s_or_b64 exec, exec, s[0:1]
	s_and_saveexec_b64 s[0:1], s[40:41]
	s_cbranch_execnz .LBB14_275
.LBB14_199:
	s_or_b64 exec, exec, s[0:1]
	s_and_saveexec_b64 s[0:1], s[42:43]
	s_cbranch_execz .LBB14_276
.LBB14_200:
	v_lshlrev_b32_e32 v10, 3, v67
	ds_read_b64 v[10:11], v10
	v_lshlrev_b32_e32 v22, 1, v0
	ds_read_u16 v24, v22 offset:3072
	v_mov_b32_e32 v26, s87
	s_waitcnt lgkmcnt(1)
	v_lshlrev_b64 v[10:11], 1, v[10:11]
	v_add_co_u32_e32 v10, vcc, s86, v10
	v_addc_co_u32_e32 v11, vcc, v26, v11, vcc
	v_add_co_u32_e32 v10, vcc, v10, v22
	v_addc_co_u32_e32 v11, vcc, 0, v11, vcc
	s_waitcnt lgkmcnt(0)
	global_store_short v[10:11], v24, off offset:1024
	s_or_b64 exec, exec, s[0:1]
	s_and_saveexec_b64 s[0:1], s[44:45]
	s_cbranch_execnz .LBB14_277
.LBB14_201:
	s_or_b64 exec, exec, s[0:1]
	s_and_saveexec_b64 s[0:1], s[46:47]
	s_cbranch_execz .LBB14_278
.LBB14_202:
	v_lshlrev_b32_e32 v10, 3, v63
	ds_read_b64 v[10:11], v10
	v_lshlrev_b32_e32 v22, 1, v0
	ds_read_u16 v24, v22 offset:4096
	v_mov_b32_e32 v26, s87
	s_waitcnt lgkmcnt(1)
	v_lshlrev_b64 v[10:11], 1, v[10:11]
	v_add_co_u32_e32 v10, vcc, s86, v10
	v_addc_co_u32_e32 v11, vcc, v26, v11, vcc
	v_add_co_u32_e32 v10, vcc, v10, v22
	v_addc_co_u32_e32 v11, vcc, 0, v11, vcc
	s_waitcnt lgkmcnt(0)
	global_store_short v[10:11], v24, off offset:2048
	s_or_b64 exec, exec, s[0:1]
	s_and_saveexec_b64 s[0:1], s[48:49]
	s_cbranch_execnz .LBB14_279
.LBB14_203:
	s_or_b64 exec, exec, s[0:1]
	s_and_saveexec_b64 s[0:1], s[50:51]
	s_cbranch_execz .LBB14_280
.LBB14_204:
	v_lshlrev_b32_e32 v10, 3, v59
	ds_read_b64 v[10:11], v10
	v_lshlrev_b32_e32 v22, 1, v0
	ds_read_u16 v24, v22 offset:5120
	v_mov_b32_e32 v26, s87
	s_waitcnt lgkmcnt(1)
	v_lshlrev_b64 v[10:11], 1, v[10:11]
	v_add_co_u32_e32 v10, vcc, s86, v10
	v_addc_co_u32_e32 v11, vcc, v26, v11, vcc
	v_add_co_u32_e32 v10, vcc, v10, v22
	v_addc_co_u32_e32 v11, vcc, 0, v11, vcc
	s_waitcnt lgkmcnt(0)
	global_store_short v[10:11], v24, off offset:3072
	s_or_b64 exec, exec, s[0:1]
	s_and_saveexec_b64 s[0:1], s[52:53]
	s_cbranch_execnz .LBB14_281
.LBB14_205:
	s_or_b64 exec, exec, s[0:1]
	s_and_saveexec_b64 s[0:1], s[54:55]
	s_cbranch_execz .LBB14_282
.LBB14_206:
	v_lshlrev_b32_e32 v10, 3, v55
	ds_read_b64 v[10:11], v10
	v_lshlrev_b32_e32 v22, 1, v0
	ds_read_u16 v22, v22 offset:6144
	v_mov_b32_e32 v24, s87
	v_lshlrev_b32_e32 v5, 1, v5
	s_waitcnt lgkmcnt(1)
	v_lshlrev_b64 v[10:11], 1, v[10:11]
	v_add_co_u32_e32 v10, vcc, s86, v10
	v_addc_co_u32_e32 v11, vcc, v24, v11, vcc
	v_add_co_u32_e32 v10, vcc, v10, v5
	v_addc_co_u32_e32 v11, vcc, 0, v11, vcc
	s_waitcnt lgkmcnt(0)
	global_store_short v[10:11], v22, off
	s_or_b64 exec, exec, s[0:1]
	s_and_saveexec_b64 s[0:1], s[56:57]
	s_cbranch_execnz .LBB14_283
.LBB14_207:
	s_or_b64 exec, exec, s[0:1]
	s_and_saveexec_b64 s[0:1], s[58:59]
	s_cbranch_execz .LBB14_284
.LBB14_208:
	v_lshlrev_b32_e32 v5, 3, v49
	ds_read_b64 v[5:6], v5
	v_lshlrev_b32_e32 v10, 1, v0
	ds_read_u16 v10, v10 offset:7168
	v_mov_b32_e32 v11, s87
	v_lshlrev_b32_e32 v8, 1, v8
	s_waitcnt lgkmcnt(1)
	v_lshlrev_b64 v[5:6], 1, v[5:6]
	v_add_co_u32_e32 v5, vcc, s86, v5
	v_addc_co_u32_e32 v6, vcc, v11, v6, vcc
	v_add_co_u32_e32 v5, vcc, v5, v8
	v_addc_co_u32_e32 v6, vcc, 0, v6, vcc
	s_waitcnt lgkmcnt(0)
	global_store_short v[5:6], v10, off
	s_or_b64 exec, exec, s[0:1]
	s_and_saveexec_b64 s[0:1], s[60:61]
	s_cbranch_execnz .LBB14_285
.LBB14_209:
	s_or_b64 exec, exec, s[0:1]
	s_and_saveexec_b64 s[0:1], s[62:63]
	s_cbranch_execz .LBB14_286
.LBB14_210:
	v_lshlrev_b32_e32 v5, 3, v43
	ds_read_b64 v[5:6], v5
	v_lshlrev_b32_e32 v8, 1, v0
	ds_read_u16 v8, v8 offset:8192
	v_mov_b32_e32 v10, s87
	s_waitcnt lgkmcnt(1)
	v_lshlrev_b64 v[5:6], 1, v[5:6]
	v_add_co_u32_e32 v5, vcc, s86, v5
	v_addc_co_u32_e32 v6, vcc, v10, v6, vcc
	v_lshlrev_b32_e32 v10, 1, v14
	v_add_co_u32_e32 v5, vcc, v5, v10
	v_addc_co_u32_e32 v6, vcc, 0, v6, vcc
	s_waitcnt lgkmcnt(0)
	global_store_short v[5:6], v8, off
	s_or_b64 exec, exec, s[0:1]
	s_and_saveexec_b64 s[0:1], s[64:65]
	s_cbranch_execnz .LBB14_287
.LBB14_211:
	s_or_b64 exec, exec, s[0:1]
	s_and_saveexec_b64 s[0:1], s[66:67]
	s_cbranch_execz .LBB14_288
.LBB14_212:
	v_lshlrev_b32_e32 v5, 3, v25
	ds_read_b64 v[5:6], v5
	v_lshlrev_b32_e32 v8, 1, v0
	ds_read_u16 v8, v8 offset:9216
	v_mov_b32_e32 v10, s87
	s_waitcnt lgkmcnt(1)
	v_lshlrev_b64 v[5:6], 1, v[5:6]
	v_add_co_u32_e32 v5, vcc, s86, v5
	v_addc_co_u32_e32 v6, vcc, v10, v6, vcc
	v_lshlrev_b32_e32 v10, 1, v16
	v_add_co_u32_e32 v5, vcc, v5, v10
	v_addc_co_u32_e32 v6, vcc, 0, v6, vcc
	s_waitcnt lgkmcnt(0)
	global_store_short v[5:6], v8, off
	s_or_b64 exec, exec, s[0:1]
	s_and_saveexec_b64 s[0:1], s[68:69]
	s_cbranch_execnz .LBB14_289
.LBB14_213:
	s_or_b64 exec, exec, s[0:1]
	s_and_saveexec_b64 s[0:1], s[70:71]
	s_cbranch_execz .LBB14_290
.LBB14_214:
	v_lshlrev_b32_e32 v4, 3, v21
	ds_read_b64 v[4:5], v4
	v_lshlrev_b32_e32 v6, 1, v0
	ds_read_u16 v6, v6 offset:10240
	v_mov_b32_e32 v8, s87
	s_waitcnt lgkmcnt(1)
	v_lshlrev_b64 v[4:5], 1, v[4:5]
	v_add_co_u32_e32 v4, vcc, s86, v4
	v_addc_co_u32_e32 v5, vcc, v8, v5, vcc
	v_lshlrev_b32_e32 v8, 1, v18
	v_add_co_u32_e32 v4, vcc, v4, v8
	v_addc_co_u32_e32 v5, vcc, 0, v5, vcc
	s_waitcnt lgkmcnt(0)
	global_store_short v[4:5], v6, off
	s_or_b64 exec, exec, s[0:1]
	s_and_saveexec_b64 s[0:1], s[72:73]
	s_cbranch_execnz .LBB14_291
.LBB14_215:
	s_or_b64 exec, exec, s[0:1]
	s_add_i32 s33, s33, -1
	s_cmp_eq_u32 s6, s33
	s_cbranch_scc0 .LBB14_217
.LBB14_216:
	ds_read_b64 v[3:4], v7
	v_add_co_u32_e32 v5, vcc, v12, v20
	v_addc_co_u32_e64 v6, s[0:1], 0, 0, vcc
	s_load_dwordx4 s[0:3], s[4:5], 0x28
	s_waitcnt lgkmcnt(0)
	v_add_co_u32_e32 v3, vcc, v5, v3
	v_addc_co_u32_e32 v4, vcc, v6, v4, vcc
	global_store_dwordx2 v7, v[3:4], s[2:3]
.LBB14_217:
	s_mov_b64 s[0:1], 0
.LBB14_218:
	s_and_b64 vcc, exec, s[0:1]
	s_cbranch_vccz .LBB14_273
; %bb.219:
	s_mov_b32 s79, 0
	s_lshl_b64 s[0:1], s[78:79], 2
	v_mbcnt_hi_u32_b32 v8, -1, v9
	s_add_u32 s0, s80, s0
	v_lshlrev_b32_e32 v4, 2, v8
	v_add_co_u32_e32 v4, vcc, s0, v4
	s_load_dword s8, s[4:5], 0x50
	s_load_dword s0, s[4:5], 0x5c
	s_addc_u32 s1, s81, s1
	v_and_b32_e32 v9, 0xc0, v0
	v_mul_u32_u24_e32 v7, 18, v9
	v_mov_b32_e32 v5, s1
	v_addc_co_u32_e32 v5, vcc, 0, v5, vcc
	v_lshlrev_b32_e32 v6, 2, v7
	v_add_co_u32_e32 v4, vcc, v4, v6
	s_add_u32 s1, s4, 0x50
	v_addc_co_u32_e32 v5, vcc, 0, v5, vcc
	s_addc_u32 s2, s5, 0
	s_waitcnt lgkmcnt(0)
	s_lshr_b32 s3, s0, 16
	global_load_dword v10, v[4:5], off
	s_cmp_lt_u32 s6, s8
	s_cselect_b32 s0, 12, 18
	s_add_u32 s0, s1, s0
	v_mov_b32_e32 v3, 0
	s_addc_u32 s1, s2, 0
	global_load_ushort v12, v3, s[0:1]
	v_mul_u32_u24_e32 v6, 20, v0
	ds_write2_b32 v6, v3, v3 offset0:4 offset1:5
	ds_write2_b32 v6, v3, v3 offset0:6 offset1:7
	ds_write_b32 v6, v3 offset:32
	global_load_dword v11, v[4:5], off offset:256
	global_load_dword v15, v[4:5], off offset:512
	;; [unrolled: 1-line block ×15, first 2 shown]
	s_movk_i32 s0, 0x1000
	v_mad_u32_u24 v13, v2, s3, v1
	v_add_co_u32_e32 v1, vcc, s0, v4
	v_addc_co_u32_e32 v2, vcc, 0, v5, vcc
	global_load_dword v24, v[1:2], off
	global_load_dword v18, v[1:2], off offset:256
	s_lshl_b32 s0, -1, s93
	s_not_b32 s9, s0
	s_waitcnt vmcnt(0) lgkmcnt(0)
	s_barrier
	; wave barrier
	v_xor_b32_e32 v5, 0x7fffffff, v10
	v_lshrrev_b32_e32 v1, s92, v5
	v_and_b32_e32 v14, s9, v1
	v_and_b32_e32 v10, 1, v14
	v_lshlrev_b32_e32 v4, 30, v14
	v_mad_u64_u32 v[1:2], s[0:1], v13, v12, v[0:1]
	v_add_co_u32_e32 v12, vcc, -1, v10
	v_addc_co_u32_e64 v13, s[0:1], 0, -1, vcc
	v_mul_lo_u32 v2, v14, 20
	v_cmp_ne_u32_e32 vcc, 0, v10
	v_cmp_gt_i64_e64 s[0:1], 0, v[3:4]
	v_not_b32_e32 v10, v4
	v_lshlrev_b32_e32 v4, 29, v14
	v_xor_b32_e32 v13, vcc_hi, v13
	v_xor_b32_e32 v12, vcc_lo, v12
	v_ashrrev_i32_e32 v10, 31, v10
	v_cmp_gt_i64_e32 vcc, 0, v[3:4]
	v_not_b32_e32 v4, v4
	v_and_b32_e32 v13, exec_hi, v13
	v_and_b32_e32 v12, exec_lo, v12
	v_xor_b32_e32 v16, s1, v10
	v_xor_b32_e32 v10, s0, v10
	v_ashrrev_i32_e32 v4, 31, v4
	v_lshrrev_b32_e32 v20, 6, v1
	v_and_b32_e32 v1, v13, v16
	v_and_b32_e32 v12, v12, v10
	v_xor_b32_e32 v13, vcc_hi, v4
	v_xor_b32_e32 v4, vcc_lo, v4
	v_lshl_add_u32 v10, v20, 2, v2
	v_and_b32_e32 v2, v12, v4
	v_lshlrev_b32_e32 v4, 28, v14
	v_cmp_gt_i64_e32 vcc, 0, v[3:4]
	v_not_b32_e32 v4, v4
	v_ashrrev_i32_e32 v4, 31, v4
	v_xor_b32_e32 v12, vcc_hi, v4
	v_xor_b32_e32 v4, vcc_lo, v4
	v_and_b32_e32 v2, v2, v4
	v_lshlrev_b32_e32 v4, 27, v14
	v_cmp_gt_i64_e32 vcc, 0, v[3:4]
	v_not_b32_e32 v4, v4
	v_and_b32_e32 v1, v1, v13
	v_ashrrev_i32_e32 v4, 31, v4
	v_and_b32_e32 v1, v1, v12
	v_xor_b32_e32 v12, vcc_hi, v4
	v_xor_b32_e32 v4, vcc_lo, v4
	v_and_b32_e32 v2, v2, v4
	v_lshlrev_b32_e32 v4, 26, v14
	v_cmp_gt_i64_e32 vcc, 0, v[3:4]
	v_not_b32_e32 v4, v4
	v_ashrrev_i32_e32 v4, 31, v4
	v_and_b32_e32 v1, v1, v12
	v_xor_b32_e32 v12, vcc_hi, v4
	v_xor_b32_e32 v4, vcc_lo, v4
	v_and_b32_e32 v2, v2, v4
	v_lshlrev_b32_e32 v4, 25, v14
	v_cmp_gt_i64_e32 vcc, 0, v[3:4]
	v_not_b32_e32 v4, v4
	v_ashrrev_i32_e32 v4, 31, v4
	v_and_b32_e32 v1, v1, v12
	v_xor_b32_e32 v12, vcc_hi, v4
	v_xor_b32_e32 v4, vcc_lo, v4
	v_and_b32_e32 v1, v1, v12
	v_and_b32_e32 v12, v2, v4
	v_lshlrev_b32_e32 v4, 24, v14
	v_cmp_gt_i64_e32 vcc, 0, v[3:4]
	v_not_b32_e32 v2, v4
	v_ashrrev_i32_e32 v2, 31, v2
	v_xor_b32_e32 v4, vcc_hi, v2
	v_xor_b32_e32 v13, vcc_lo, v2
	v_and_b32_e32 v2, v1, v4
	v_and_b32_e32 v1, v12, v13
	v_mbcnt_lo_u32_b32 v4, v1, 0
	v_mbcnt_hi_u32_b32 v12, v2, v4
	v_cmp_ne_u64_e32 vcc, 0, v[1:2]
	v_cmp_eq_u32_e64 s[0:1], 0, v12
	s_and_b64 s[2:3], vcc, s[0:1]
	s_and_saveexec_b64 s[0:1], s[2:3]
; %bb.220:
	v_bcnt_u32_b32 v1, v1, 0
	v_bcnt_u32_b32 v1, v2, v1
	ds_write_b32 v10, v1 offset:16
; %bb.221:
	s_or_b64 exec, exec, s[0:1]
	v_xor_b32_e32 v11, 0x7fffffff, v11
	v_lshrrev_b32_e32 v1, s92, v11
	v_and_b32_e32 v1, s9, v1
	v_mul_lo_u32 v2, v1, 20
	v_and_b32_e32 v4, 1, v1
	; wave barrier
	v_lshl_add_u32 v14, v20, 2, v2
	v_add_co_u32_e32 v2, vcc, -1, v4
	v_addc_co_u32_e64 v16, s[0:1], 0, -1, vcc
	v_cmp_ne_u32_e32 vcc, 0, v4
	v_xor_b32_e32 v4, vcc_hi, v16
	v_and_b32_e32 v16, exec_hi, v4
	v_lshlrev_b32_e32 v4, 30, v1
	v_xor_b32_e32 v2, vcc_lo, v2
	v_cmp_gt_i64_e32 vcc, 0, v[3:4]
	v_not_b32_e32 v4, v4
	v_ashrrev_i32_e32 v4, 31, v4
	v_and_b32_e32 v2, exec_lo, v2
	v_xor_b32_e32 v17, vcc_hi, v4
	v_xor_b32_e32 v4, vcc_lo, v4
	v_and_b32_e32 v2, v2, v4
	v_lshlrev_b32_e32 v4, 29, v1
	v_cmp_gt_i64_e32 vcc, 0, v[3:4]
	v_not_b32_e32 v4, v4
	v_ashrrev_i32_e32 v4, 31, v4
	v_and_b32_e32 v16, v16, v17
	v_xor_b32_e32 v17, vcc_hi, v4
	v_xor_b32_e32 v4, vcc_lo, v4
	v_and_b32_e32 v2, v2, v4
	v_lshlrev_b32_e32 v4, 28, v1
	v_cmp_gt_i64_e32 vcc, 0, v[3:4]
	v_not_b32_e32 v4, v4
	v_ashrrev_i32_e32 v4, 31, v4
	v_and_b32_e32 v16, v16, v17
	;; [unrolled: 8-line block ×5, first 2 shown]
	v_xor_b32_e32 v17, vcc_hi, v4
	v_xor_b32_e32 v4, vcc_lo, v4
	v_and_b32_e32 v16, v16, v17
	v_and_b32_e32 v17, v2, v4
	v_lshlrev_b32_e32 v4, 24, v1
	v_cmp_gt_i64_e32 vcc, 0, v[3:4]
	v_not_b32_e32 v1, v4
	v_ashrrev_i32_e32 v1, 31, v1
	v_xor_b32_e32 v2, vcc_hi, v1
	v_xor_b32_e32 v1, vcc_lo, v1
	ds_read_b32 v13, v14 offset:16
	v_and_b32_e32 v1, v17, v1
	v_and_b32_e32 v2, v16, v2
	v_mbcnt_lo_u32_b32 v3, v1, 0
	v_mbcnt_hi_u32_b32 v16, v2, v3
	v_cmp_ne_u64_e32 vcc, 0, v[1:2]
	v_cmp_eq_u32_e64 s[0:1], 0, v16
	s_and_b64 s[2:3], vcc, s[0:1]
	; wave barrier
	s_and_saveexec_b64 s[0:1], s[2:3]
	s_cbranch_execz .LBB14_223
; %bb.222:
	v_bcnt_u32_b32 v1, v1, 0
	v_bcnt_u32_b32 v1, v2, v1
	s_waitcnt lgkmcnt(0)
	v_add_u32_e32 v1, v13, v1
	ds_write_b32 v14, v1 offset:16
.LBB14_223:
	s_or_b64 exec, exec, s[0:1]
	v_xor_b32_e32 v15, 0x7fffffff, v15
	v_lshrrev_b32_e32 v1, s92, v15
	v_and_b32_e32 v3, s9, v1
	v_mul_lo_u32 v1, v3, 20
	v_and_b32_e32 v2, 1, v3
	v_add_co_u32_e32 v4, vcc, -1, v2
	v_addc_co_u32_e64 v22, s[0:1], 0, -1, vcc
	v_cmp_ne_u32_e32 vcc, 0, v2
	v_xor_b32_e32 v2, vcc_hi, v22
	v_lshl_add_u32 v19, v20, 2, v1
	v_mov_b32_e32 v1, 0
	v_and_b32_e32 v22, exec_hi, v2
	v_lshlrev_b32_e32 v2, 30, v3
	v_xor_b32_e32 v4, vcc_lo, v4
	v_cmp_gt_i64_e32 vcc, 0, v[1:2]
	v_not_b32_e32 v2, v2
	v_ashrrev_i32_e32 v2, 31, v2
	v_and_b32_e32 v4, exec_lo, v4
	v_xor_b32_e32 v23, vcc_hi, v2
	v_xor_b32_e32 v2, vcc_lo, v2
	v_and_b32_e32 v4, v4, v2
	v_lshlrev_b32_e32 v2, 29, v3
	v_cmp_gt_i64_e32 vcc, 0, v[1:2]
	v_not_b32_e32 v2, v2
	v_ashrrev_i32_e32 v2, 31, v2
	v_and_b32_e32 v22, v22, v23
	v_xor_b32_e32 v23, vcc_hi, v2
	v_xor_b32_e32 v2, vcc_lo, v2
	v_and_b32_e32 v4, v4, v2
	v_lshlrev_b32_e32 v2, 28, v3
	v_cmp_gt_i64_e32 vcc, 0, v[1:2]
	v_not_b32_e32 v2, v2
	v_ashrrev_i32_e32 v2, 31, v2
	v_and_b32_e32 v22, v22, v23
	;; [unrolled: 8-line block ×5, first 2 shown]
	v_xor_b32_e32 v23, vcc_hi, v2
	v_xor_b32_e32 v2, vcc_lo, v2
	v_and_b32_e32 v4, v4, v2
	v_lshlrev_b32_e32 v2, 24, v3
	v_cmp_gt_i64_e32 vcc, 0, v[1:2]
	v_not_b32_e32 v2, v2
	v_ashrrev_i32_e32 v2, 31, v2
	v_xor_b32_e32 v3, vcc_hi, v2
	v_xor_b32_e32 v2, vcc_lo, v2
	; wave barrier
	ds_read_b32 v17, v19 offset:16
	v_and_b32_e32 v22, v22, v23
	v_and_b32_e32 v2, v4, v2
	;; [unrolled: 1-line block ×3, first 2 shown]
	v_mbcnt_lo_u32_b32 v4, v2, 0
	v_mbcnt_hi_u32_b32 v22, v3, v4
	v_cmp_ne_u64_e32 vcc, 0, v[2:3]
	v_cmp_eq_u32_e64 s[0:1], 0, v22
	s_and_b64 s[2:3], vcc, s[0:1]
	; wave barrier
	s_and_saveexec_b64 s[0:1], s[2:3]
	s_cbranch_execz .LBB14_225
; %bb.224:
	v_bcnt_u32_b32 v2, v2, 0
	v_bcnt_u32_b32 v2, v3, v2
	s_waitcnt lgkmcnt(0)
	v_add_u32_e32 v2, v17, v2
	ds_write_b32 v19, v2 offset:16
.LBB14_225:
	s_or_b64 exec, exec, s[0:1]
	v_xor_b32_e32 v21, 0x7fffffff, v21
	v_lshrrev_b32_e32 v2, s92, v21
	v_and_b32_e32 v3, s9, v2
	v_mul_lo_u32 v2, v3, 20
	v_and_b32_e32 v4, 1, v3
	; wave barrier
	v_lshl_add_u32 v25, v20, 2, v2
	v_add_co_u32_e32 v2, vcc, -1, v4
	v_addc_co_u32_e64 v27, s[0:1], 0, -1, vcc
	v_cmp_ne_u32_e32 vcc, 0, v4
	v_xor_b32_e32 v2, vcc_lo, v2
	v_xor_b32_e32 v4, vcc_hi, v27
	v_and_b32_e32 v27, exec_lo, v2
	v_lshlrev_b32_e32 v2, 30, v3
	v_cmp_gt_i64_e32 vcc, 0, v[1:2]
	v_not_b32_e32 v2, v2
	v_ashrrev_i32_e32 v2, 31, v2
	v_xor_b32_e32 v28, vcc_hi, v2
	v_xor_b32_e32 v2, vcc_lo, v2
	v_and_b32_e32 v27, v27, v2
	v_lshlrev_b32_e32 v2, 29, v3
	v_cmp_gt_i64_e32 vcc, 0, v[1:2]
	v_not_b32_e32 v2, v2
	v_and_b32_e32 v4, exec_hi, v4
	v_ashrrev_i32_e32 v2, 31, v2
	v_and_b32_e32 v4, v4, v28
	v_xor_b32_e32 v28, vcc_hi, v2
	v_xor_b32_e32 v2, vcc_lo, v2
	v_and_b32_e32 v27, v27, v2
	v_lshlrev_b32_e32 v2, 28, v3
	v_cmp_gt_i64_e32 vcc, 0, v[1:2]
	v_not_b32_e32 v2, v2
	v_ashrrev_i32_e32 v2, 31, v2
	v_and_b32_e32 v4, v4, v28
	v_xor_b32_e32 v28, vcc_hi, v2
	v_xor_b32_e32 v2, vcc_lo, v2
	v_and_b32_e32 v27, v27, v2
	v_lshlrev_b32_e32 v2, 27, v3
	v_cmp_gt_i64_e32 vcc, 0, v[1:2]
	v_not_b32_e32 v2, v2
	;; [unrolled: 8-line block ×5, first 2 shown]
	v_ashrrev_i32_e32 v1, 31, v1
	v_xor_b32_e32 v2, vcc_hi, v1
	v_xor_b32_e32 v1, vcc_lo, v1
	ds_read_b32 v23, v25 offset:16
	v_and_b32_e32 v4, v4, v28
	v_and_b32_e32 v1, v27, v1
	;; [unrolled: 1-line block ×3, first 2 shown]
	v_mbcnt_lo_u32_b32 v3, v1, 0
	v_mbcnt_hi_u32_b32 v27, v2, v3
	v_cmp_ne_u64_e32 vcc, 0, v[1:2]
	v_cmp_eq_u32_e64 s[0:1], 0, v27
	s_and_b64 s[2:3], vcc, s[0:1]
	; wave barrier
	s_and_saveexec_b64 s[0:1], s[2:3]
	s_cbranch_execz .LBB14_227
; %bb.226:
	v_bcnt_u32_b32 v1, v1, 0
	v_bcnt_u32_b32 v1, v2, v1
	s_waitcnt lgkmcnt(0)
	v_add_u32_e32 v1, v23, v1
	ds_write_b32 v25, v1 offset:16
.LBB14_227:
	s_or_b64 exec, exec, s[0:1]
	v_xor_b32_e32 v26, 0x7fffffff, v26
	v_lshrrev_b32_e32 v1, s92, v26
	v_and_b32_e32 v3, s9, v1
	v_mul_lo_u32 v1, v3, 20
	v_and_b32_e32 v2, 1, v3
	v_add_co_u32_e32 v4, vcc, -1, v2
	v_addc_co_u32_e64 v32, s[0:1], 0, -1, vcc
	v_cmp_ne_u32_e32 vcc, 0, v2
	v_xor_b32_e32 v2, vcc_hi, v32
	v_lshl_add_u32 v30, v20, 2, v1
	v_mov_b32_e32 v1, 0
	v_and_b32_e32 v32, exec_hi, v2
	v_lshlrev_b32_e32 v2, 30, v3
	v_xor_b32_e32 v4, vcc_lo, v4
	v_cmp_gt_i64_e32 vcc, 0, v[1:2]
	v_not_b32_e32 v2, v2
	v_ashrrev_i32_e32 v2, 31, v2
	v_and_b32_e32 v4, exec_lo, v4
	v_xor_b32_e32 v33, vcc_hi, v2
	v_xor_b32_e32 v2, vcc_lo, v2
	v_and_b32_e32 v4, v4, v2
	v_lshlrev_b32_e32 v2, 29, v3
	v_cmp_gt_i64_e32 vcc, 0, v[1:2]
	v_not_b32_e32 v2, v2
	v_ashrrev_i32_e32 v2, 31, v2
	v_and_b32_e32 v32, v32, v33
	v_xor_b32_e32 v33, vcc_hi, v2
	v_xor_b32_e32 v2, vcc_lo, v2
	v_and_b32_e32 v4, v4, v2
	v_lshlrev_b32_e32 v2, 28, v3
	v_cmp_gt_i64_e32 vcc, 0, v[1:2]
	v_not_b32_e32 v2, v2
	v_ashrrev_i32_e32 v2, 31, v2
	v_and_b32_e32 v32, v32, v33
	;; [unrolled: 8-line block ×5, first 2 shown]
	v_xor_b32_e32 v33, vcc_hi, v2
	v_xor_b32_e32 v2, vcc_lo, v2
	v_and_b32_e32 v4, v4, v2
	v_lshlrev_b32_e32 v2, 24, v3
	v_cmp_gt_i64_e32 vcc, 0, v[1:2]
	v_not_b32_e32 v2, v2
	v_ashrrev_i32_e32 v2, 31, v2
	v_xor_b32_e32 v3, vcc_hi, v2
	v_xor_b32_e32 v2, vcc_lo, v2
	; wave barrier
	ds_read_b32 v28, v30 offset:16
	v_and_b32_e32 v32, v32, v33
	v_and_b32_e32 v2, v4, v2
	;; [unrolled: 1-line block ×3, first 2 shown]
	v_mbcnt_lo_u32_b32 v4, v2, 0
	v_mbcnt_hi_u32_b32 v32, v3, v4
	v_cmp_ne_u64_e32 vcc, 0, v[2:3]
	v_cmp_eq_u32_e64 s[0:1], 0, v32
	s_and_b64 s[2:3], vcc, s[0:1]
	; wave barrier
	s_and_saveexec_b64 s[0:1], s[2:3]
	s_cbranch_execz .LBB14_229
; %bb.228:
	v_bcnt_u32_b32 v2, v2, 0
	v_bcnt_u32_b32 v2, v3, v2
	s_waitcnt lgkmcnt(0)
	v_add_u32_e32 v2, v28, v2
	ds_write_b32 v30, v2 offset:16
.LBB14_229:
	s_or_b64 exec, exec, s[0:1]
	v_xor_b32_e32 v31, 0x7fffffff, v31
	v_lshrrev_b32_e32 v2, s92, v31
	v_and_b32_e32 v3, s9, v2
	v_mul_lo_u32 v2, v3, 20
	v_and_b32_e32 v4, 1, v3
	; wave barrier
	v_lshl_add_u32 v35, v20, 2, v2
	v_add_co_u32_e32 v2, vcc, -1, v4
	v_addc_co_u32_e64 v37, s[0:1], 0, -1, vcc
	v_cmp_ne_u32_e32 vcc, 0, v4
	v_xor_b32_e32 v2, vcc_lo, v2
	v_xor_b32_e32 v4, vcc_hi, v37
	v_and_b32_e32 v37, exec_lo, v2
	v_lshlrev_b32_e32 v2, 30, v3
	v_cmp_gt_i64_e32 vcc, 0, v[1:2]
	v_not_b32_e32 v2, v2
	v_ashrrev_i32_e32 v2, 31, v2
	v_xor_b32_e32 v38, vcc_hi, v2
	v_xor_b32_e32 v2, vcc_lo, v2
	v_and_b32_e32 v37, v37, v2
	v_lshlrev_b32_e32 v2, 29, v3
	v_cmp_gt_i64_e32 vcc, 0, v[1:2]
	v_not_b32_e32 v2, v2
	v_and_b32_e32 v4, exec_hi, v4
	v_ashrrev_i32_e32 v2, 31, v2
	v_and_b32_e32 v4, v4, v38
	v_xor_b32_e32 v38, vcc_hi, v2
	v_xor_b32_e32 v2, vcc_lo, v2
	v_and_b32_e32 v37, v37, v2
	v_lshlrev_b32_e32 v2, 28, v3
	v_cmp_gt_i64_e32 vcc, 0, v[1:2]
	v_not_b32_e32 v2, v2
	v_ashrrev_i32_e32 v2, 31, v2
	v_and_b32_e32 v4, v4, v38
	v_xor_b32_e32 v38, vcc_hi, v2
	v_xor_b32_e32 v2, vcc_lo, v2
	v_and_b32_e32 v37, v37, v2
	v_lshlrev_b32_e32 v2, 27, v3
	v_cmp_gt_i64_e32 vcc, 0, v[1:2]
	v_not_b32_e32 v2, v2
	;; [unrolled: 8-line block ×5, first 2 shown]
	v_ashrrev_i32_e32 v1, 31, v1
	v_xor_b32_e32 v2, vcc_hi, v1
	v_xor_b32_e32 v1, vcc_lo, v1
	ds_read_b32 v33, v35 offset:16
	v_and_b32_e32 v4, v4, v38
	v_and_b32_e32 v1, v37, v1
	;; [unrolled: 1-line block ×3, first 2 shown]
	v_mbcnt_lo_u32_b32 v3, v1, 0
	v_mbcnt_hi_u32_b32 v37, v2, v3
	v_cmp_ne_u64_e32 vcc, 0, v[1:2]
	v_cmp_eq_u32_e64 s[0:1], 0, v37
	s_and_b64 s[2:3], vcc, s[0:1]
	; wave barrier
	s_and_saveexec_b64 s[0:1], s[2:3]
	s_cbranch_execz .LBB14_231
; %bb.230:
	v_bcnt_u32_b32 v1, v1, 0
	v_bcnt_u32_b32 v1, v2, v1
	s_waitcnt lgkmcnt(0)
	v_add_u32_e32 v1, v33, v1
	ds_write_b32 v35, v1 offset:16
.LBB14_231:
	s_or_b64 exec, exec, s[0:1]
	v_xor_b32_e32 v36, 0x7fffffff, v36
	v_lshrrev_b32_e32 v1, s92, v36
	v_and_b32_e32 v3, s9, v1
	v_mul_lo_u32 v1, v3, 20
	v_and_b32_e32 v2, 1, v3
	v_add_co_u32_e32 v4, vcc, -1, v2
	v_addc_co_u32_e64 v42, s[0:1], 0, -1, vcc
	v_cmp_ne_u32_e32 vcc, 0, v2
	v_xor_b32_e32 v2, vcc_hi, v42
	v_lshl_add_u32 v40, v20, 2, v1
	v_mov_b32_e32 v1, 0
	v_and_b32_e32 v42, exec_hi, v2
	v_lshlrev_b32_e32 v2, 30, v3
	v_xor_b32_e32 v4, vcc_lo, v4
	v_cmp_gt_i64_e32 vcc, 0, v[1:2]
	v_not_b32_e32 v2, v2
	v_ashrrev_i32_e32 v2, 31, v2
	v_and_b32_e32 v4, exec_lo, v4
	v_xor_b32_e32 v43, vcc_hi, v2
	v_xor_b32_e32 v2, vcc_lo, v2
	v_and_b32_e32 v4, v4, v2
	v_lshlrev_b32_e32 v2, 29, v3
	v_cmp_gt_i64_e32 vcc, 0, v[1:2]
	v_not_b32_e32 v2, v2
	v_ashrrev_i32_e32 v2, 31, v2
	v_and_b32_e32 v42, v42, v43
	v_xor_b32_e32 v43, vcc_hi, v2
	v_xor_b32_e32 v2, vcc_lo, v2
	v_and_b32_e32 v4, v4, v2
	v_lshlrev_b32_e32 v2, 28, v3
	v_cmp_gt_i64_e32 vcc, 0, v[1:2]
	v_not_b32_e32 v2, v2
	v_ashrrev_i32_e32 v2, 31, v2
	v_and_b32_e32 v42, v42, v43
	;; [unrolled: 8-line block ×5, first 2 shown]
	v_xor_b32_e32 v43, vcc_hi, v2
	v_xor_b32_e32 v2, vcc_lo, v2
	v_and_b32_e32 v4, v4, v2
	v_lshlrev_b32_e32 v2, 24, v3
	v_cmp_gt_i64_e32 vcc, 0, v[1:2]
	v_not_b32_e32 v2, v2
	v_ashrrev_i32_e32 v2, 31, v2
	v_xor_b32_e32 v3, vcc_hi, v2
	v_xor_b32_e32 v2, vcc_lo, v2
	; wave barrier
	ds_read_b32 v38, v40 offset:16
	v_and_b32_e32 v42, v42, v43
	v_and_b32_e32 v2, v4, v2
	;; [unrolled: 1-line block ×3, first 2 shown]
	v_mbcnt_lo_u32_b32 v4, v2, 0
	v_mbcnt_hi_u32_b32 v42, v3, v4
	v_cmp_ne_u64_e32 vcc, 0, v[2:3]
	v_cmp_eq_u32_e64 s[0:1], 0, v42
	s_and_b64 s[2:3], vcc, s[0:1]
	; wave barrier
	s_and_saveexec_b64 s[0:1], s[2:3]
	s_cbranch_execz .LBB14_233
; %bb.232:
	v_bcnt_u32_b32 v2, v2, 0
	v_bcnt_u32_b32 v2, v3, v2
	s_waitcnt lgkmcnt(0)
	v_add_u32_e32 v2, v38, v2
	ds_write_b32 v40, v2 offset:16
.LBB14_233:
	s_or_b64 exec, exec, s[0:1]
	v_xor_b32_e32 v41, 0x7fffffff, v41
	v_lshrrev_b32_e32 v2, s92, v41
	v_and_b32_e32 v3, s9, v2
	v_mul_lo_u32 v2, v3, 20
	v_and_b32_e32 v4, 1, v3
	; wave barrier
	v_lshl_add_u32 v45, v20, 2, v2
	v_add_co_u32_e32 v2, vcc, -1, v4
	v_addc_co_u32_e64 v47, s[0:1], 0, -1, vcc
	v_cmp_ne_u32_e32 vcc, 0, v4
	v_xor_b32_e32 v2, vcc_lo, v2
	v_xor_b32_e32 v4, vcc_hi, v47
	v_and_b32_e32 v47, exec_lo, v2
	v_lshlrev_b32_e32 v2, 30, v3
	v_cmp_gt_i64_e32 vcc, 0, v[1:2]
	v_not_b32_e32 v2, v2
	v_ashrrev_i32_e32 v2, 31, v2
	v_xor_b32_e32 v48, vcc_hi, v2
	v_xor_b32_e32 v2, vcc_lo, v2
	v_and_b32_e32 v47, v47, v2
	v_lshlrev_b32_e32 v2, 29, v3
	v_cmp_gt_i64_e32 vcc, 0, v[1:2]
	v_not_b32_e32 v2, v2
	v_and_b32_e32 v4, exec_hi, v4
	v_ashrrev_i32_e32 v2, 31, v2
	v_and_b32_e32 v4, v4, v48
	v_xor_b32_e32 v48, vcc_hi, v2
	v_xor_b32_e32 v2, vcc_lo, v2
	v_and_b32_e32 v47, v47, v2
	v_lshlrev_b32_e32 v2, 28, v3
	v_cmp_gt_i64_e32 vcc, 0, v[1:2]
	v_not_b32_e32 v2, v2
	v_ashrrev_i32_e32 v2, 31, v2
	v_and_b32_e32 v4, v4, v48
	v_xor_b32_e32 v48, vcc_hi, v2
	v_xor_b32_e32 v2, vcc_lo, v2
	v_and_b32_e32 v47, v47, v2
	v_lshlrev_b32_e32 v2, 27, v3
	v_cmp_gt_i64_e32 vcc, 0, v[1:2]
	v_not_b32_e32 v2, v2
	v_ashrrev_i32_e32 v2, 31, v2
	v_and_b32_e32 v4, v4, v48
	v_xor_b32_e32 v48, vcc_hi, v2
	v_xor_b32_e32 v2, vcc_lo, v2
	v_and_b32_e32 v47, v47, v2
	v_lshlrev_b32_e32 v2, 26, v3
	v_cmp_gt_i64_e32 vcc, 0, v[1:2]
	v_not_b32_e32 v2, v2
	v_ashrrev_i32_e32 v2, 31, v2
	v_and_b32_e32 v4, v4, v48
	v_xor_b32_e32 v48, vcc_hi, v2
	v_xor_b32_e32 v2, vcc_lo, v2
	v_and_b32_e32 v47, v47, v2
	v_lshlrev_b32_e32 v2, 25, v3
	v_cmp_gt_i64_e32 vcc, 0, v[1:2]
	v_not_b32_e32 v2, v2
	v_ashrrev_i32_e32 v2, 31, v2
	v_and_b32_e32 v4, v4, v48
	v_xor_b32_e32 v48, vcc_hi, v2
	v_xor_b32_e32 v2, vcc_lo, v2
	v_and_b32_e32 v47, v47, v2
	v_lshlrev_b32_e32 v2, 24, v3
	v_cmp_gt_i64_e32 vcc, 0, v[1:2]
	v_not_b32_e32 v1, v2
	v_ashrrev_i32_e32 v1, 31, v1
	v_xor_b32_e32 v2, vcc_hi, v1
	v_xor_b32_e32 v1, vcc_lo, v1
	ds_read_b32 v43, v45 offset:16
	v_and_b32_e32 v4, v4, v48
	v_and_b32_e32 v1, v47, v1
	;; [unrolled: 1-line block ×3, first 2 shown]
	v_mbcnt_lo_u32_b32 v3, v1, 0
	v_mbcnt_hi_u32_b32 v47, v2, v3
	v_cmp_ne_u64_e32 vcc, 0, v[1:2]
	v_cmp_eq_u32_e64 s[0:1], 0, v47
	s_and_b64 s[2:3], vcc, s[0:1]
	; wave barrier
	s_and_saveexec_b64 s[0:1], s[2:3]
	s_cbranch_execz .LBB14_235
; %bb.234:
	v_bcnt_u32_b32 v1, v1, 0
	v_bcnt_u32_b32 v1, v2, v1
	s_waitcnt lgkmcnt(0)
	v_add_u32_e32 v1, v43, v1
	ds_write_b32 v45, v1 offset:16
.LBB14_235:
	s_or_b64 exec, exec, s[0:1]
	v_xor_b32_e32 v46, 0x7fffffff, v46
	v_lshrrev_b32_e32 v1, s92, v46
	v_and_b32_e32 v3, s9, v1
	v_mul_lo_u32 v1, v3, 20
	v_and_b32_e32 v2, 1, v3
	v_add_co_u32_e32 v4, vcc, -1, v2
	v_addc_co_u32_e64 v52, s[0:1], 0, -1, vcc
	v_cmp_ne_u32_e32 vcc, 0, v2
	v_xor_b32_e32 v2, vcc_hi, v52
	v_lshl_add_u32 v50, v20, 2, v1
	v_mov_b32_e32 v1, 0
	v_and_b32_e32 v52, exec_hi, v2
	v_lshlrev_b32_e32 v2, 30, v3
	v_xor_b32_e32 v4, vcc_lo, v4
	v_cmp_gt_i64_e32 vcc, 0, v[1:2]
	v_not_b32_e32 v2, v2
	v_ashrrev_i32_e32 v2, 31, v2
	v_and_b32_e32 v4, exec_lo, v4
	v_xor_b32_e32 v53, vcc_hi, v2
	v_xor_b32_e32 v2, vcc_lo, v2
	v_and_b32_e32 v4, v4, v2
	v_lshlrev_b32_e32 v2, 29, v3
	v_cmp_gt_i64_e32 vcc, 0, v[1:2]
	v_not_b32_e32 v2, v2
	v_ashrrev_i32_e32 v2, 31, v2
	v_and_b32_e32 v52, v52, v53
	v_xor_b32_e32 v53, vcc_hi, v2
	v_xor_b32_e32 v2, vcc_lo, v2
	v_and_b32_e32 v4, v4, v2
	v_lshlrev_b32_e32 v2, 28, v3
	v_cmp_gt_i64_e32 vcc, 0, v[1:2]
	v_not_b32_e32 v2, v2
	v_ashrrev_i32_e32 v2, 31, v2
	v_and_b32_e32 v52, v52, v53
	;; [unrolled: 8-line block ×5, first 2 shown]
	v_xor_b32_e32 v53, vcc_hi, v2
	v_xor_b32_e32 v2, vcc_lo, v2
	v_and_b32_e32 v4, v4, v2
	v_lshlrev_b32_e32 v2, 24, v3
	v_cmp_gt_i64_e32 vcc, 0, v[1:2]
	v_not_b32_e32 v2, v2
	v_ashrrev_i32_e32 v2, 31, v2
	v_xor_b32_e32 v3, vcc_hi, v2
	v_xor_b32_e32 v2, vcc_lo, v2
	; wave barrier
	ds_read_b32 v48, v50 offset:16
	v_and_b32_e32 v52, v52, v53
	v_and_b32_e32 v2, v4, v2
	;; [unrolled: 1-line block ×3, first 2 shown]
	v_mbcnt_lo_u32_b32 v4, v2, 0
	v_mbcnt_hi_u32_b32 v52, v3, v4
	v_cmp_ne_u64_e32 vcc, 0, v[2:3]
	v_cmp_eq_u32_e64 s[0:1], 0, v52
	s_and_b64 s[2:3], vcc, s[0:1]
	; wave barrier
	s_and_saveexec_b64 s[0:1], s[2:3]
	s_cbranch_execz .LBB14_237
; %bb.236:
	v_bcnt_u32_b32 v2, v2, 0
	v_bcnt_u32_b32 v2, v3, v2
	s_waitcnt lgkmcnt(0)
	v_add_u32_e32 v2, v48, v2
	ds_write_b32 v50, v2 offset:16
.LBB14_237:
	s_or_b64 exec, exec, s[0:1]
	v_xor_b32_e32 v51, 0x7fffffff, v51
	v_lshrrev_b32_e32 v2, s92, v51
	v_and_b32_e32 v3, s9, v2
	v_mul_lo_u32 v2, v3, 20
	v_and_b32_e32 v4, 1, v3
	; wave barrier
	v_lshl_add_u32 v55, v20, 2, v2
	v_add_co_u32_e32 v2, vcc, -1, v4
	v_addc_co_u32_e64 v56, s[0:1], 0, -1, vcc
	v_cmp_ne_u32_e32 vcc, 0, v4
	v_xor_b32_e32 v2, vcc_lo, v2
	v_xor_b32_e32 v4, vcc_hi, v56
	v_and_b32_e32 v56, exec_lo, v2
	v_lshlrev_b32_e32 v2, 30, v3
	v_cmp_gt_i64_e32 vcc, 0, v[1:2]
	v_not_b32_e32 v2, v2
	v_ashrrev_i32_e32 v2, 31, v2
	v_xor_b32_e32 v57, vcc_hi, v2
	v_xor_b32_e32 v2, vcc_lo, v2
	v_and_b32_e32 v56, v56, v2
	v_lshlrev_b32_e32 v2, 29, v3
	v_cmp_gt_i64_e32 vcc, 0, v[1:2]
	v_not_b32_e32 v2, v2
	v_and_b32_e32 v4, exec_hi, v4
	v_ashrrev_i32_e32 v2, 31, v2
	v_and_b32_e32 v4, v4, v57
	v_xor_b32_e32 v57, vcc_hi, v2
	v_xor_b32_e32 v2, vcc_lo, v2
	v_and_b32_e32 v56, v56, v2
	v_lshlrev_b32_e32 v2, 28, v3
	v_cmp_gt_i64_e32 vcc, 0, v[1:2]
	v_not_b32_e32 v2, v2
	v_ashrrev_i32_e32 v2, 31, v2
	v_and_b32_e32 v4, v4, v57
	v_xor_b32_e32 v57, vcc_hi, v2
	v_xor_b32_e32 v2, vcc_lo, v2
	v_and_b32_e32 v56, v56, v2
	v_lshlrev_b32_e32 v2, 27, v3
	v_cmp_gt_i64_e32 vcc, 0, v[1:2]
	v_not_b32_e32 v2, v2
	;; [unrolled: 8-line block ×5, first 2 shown]
	v_ashrrev_i32_e32 v1, 31, v1
	v_xor_b32_e32 v2, vcc_hi, v1
	v_xor_b32_e32 v1, vcc_lo, v1
	ds_read_b32 v53, v55 offset:16
	v_and_b32_e32 v4, v4, v57
	v_and_b32_e32 v1, v56, v1
	v_and_b32_e32 v2, v4, v2
	v_mbcnt_lo_u32_b32 v3, v1, 0
	v_mbcnt_hi_u32_b32 v56, v2, v3
	v_cmp_ne_u64_e32 vcc, 0, v[1:2]
	v_cmp_eq_u32_e64 s[0:1], 0, v56
	s_and_b64 s[2:3], vcc, s[0:1]
	; wave barrier
	s_and_saveexec_b64 s[0:1], s[2:3]
	s_cbranch_execz .LBB14_239
; %bb.238:
	v_bcnt_u32_b32 v1, v1, 0
	v_bcnt_u32_b32 v1, v2, v1
	s_waitcnt lgkmcnt(0)
	v_add_u32_e32 v1, v53, v1
	ds_write_b32 v55, v1 offset:16
.LBB14_239:
	s_or_b64 exec, exec, s[0:1]
	v_xor_b32_e32 v54, 0x7fffffff, v54
	v_lshrrev_b32_e32 v1, s92, v54
	v_and_b32_e32 v3, s9, v1
	v_mul_lo_u32 v1, v3, 20
	v_and_b32_e32 v2, 1, v3
	v_add_co_u32_e32 v4, vcc, -1, v2
	v_addc_co_u32_e64 v59, s[0:1], 0, -1, vcc
	v_cmp_ne_u32_e32 vcc, 0, v2
	v_xor_b32_e32 v2, vcc_hi, v59
	v_lshl_add_u32 v58, v20, 2, v1
	v_mov_b32_e32 v1, 0
	v_and_b32_e32 v59, exec_hi, v2
	v_lshlrev_b32_e32 v2, 30, v3
	v_xor_b32_e32 v4, vcc_lo, v4
	v_cmp_gt_i64_e32 vcc, 0, v[1:2]
	v_not_b32_e32 v2, v2
	v_ashrrev_i32_e32 v2, 31, v2
	v_and_b32_e32 v4, exec_lo, v4
	v_xor_b32_e32 v60, vcc_hi, v2
	v_xor_b32_e32 v2, vcc_lo, v2
	v_and_b32_e32 v4, v4, v2
	v_lshlrev_b32_e32 v2, 29, v3
	v_cmp_gt_i64_e32 vcc, 0, v[1:2]
	v_not_b32_e32 v2, v2
	v_ashrrev_i32_e32 v2, 31, v2
	v_and_b32_e32 v59, v59, v60
	v_xor_b32_e32 v60, vcc_hi, v2
	v_xor_b32_e32 v2, vcc_lo, v2
	v_and_b32_e32 v4, v4, v2
	v_lshlrev_b32_e32 v2, 28, v3
	v_cmp_gt_i64_e32 vcc, 0, v[1:2]
	v_not_b32_e32 v2, v2
	v_ashrrev_i32_e32 v2, 31, v2
	v_and_b32_e32 v59, v59, v60
	v_xor_b32_e32 v60, vcc_hi, v2
	v_xor_b32_e32 v2, vcc_lo, v2
	v_and_b32_e32 v4, v4, v2
	v_lshlrev_b32_e32 v2, 27, v3
	v_cmp_gt_i64_e32 vcc, 0, v[1:2]
	v_not_b32_e32 v2, v2
	v_ashrrev_i32_e32 v2, 31, v2
	v_and_b32_e32 v59, v59, v60
	v_xor_b32_e32 v60, vcc_hi, v2
	v_xor_b32_e32 v2, vcc_lo, v2
	v_and_b32_e32 v4, v4, v2
	v_lshlrev_b32_e32 v2, 26, v3
	v_cmp_gt_i64_e32 vcc, 0, v[1:2]
	v_not_b32_e32 v2, v2
	v_ashrrev_i32_e32 v2, 31, v2
	v_and_b32_e32 v59, v59, v60
	v_xor_b32_e32 v60, vcc_hi, v2
	v_xor_b32_e32 v2, vcc_lo, v2
	v_and_b32_e32 v4, v4, v2
	v_lshlrev_b32_e32 v2, 25, v3
	v_cmp_gt_i64_e32 vcc, 0, v[1:2]
	v_not_b32_e32 v2, v2
	v_ashrrev_i32_e32 v2, 31, v2
	v_and_b32_e32 v59, v59, v60
	v_xor_b32_e32 v60, vcc_hi, v2
	v_xor_b32_e32 v2, vcc_lo, v2
	v_and_b32_e32 v4, v4, v2
	v_lshlrev_b32_e32 v2, 24, v3
	v_cmp_gt_i64_e32 vcc, 0, v[1:2]
	v_not_b32_e32 v2, v2
	v_ashrrev_i32_e32 v2, 31, v2
	v_xor_b32_e32 v3, vcc_hi, v2
	v_xor_b32_e32 v2, vcc_lo, v2
	; wave barrier
	ds_read_b32 v57, v58 offset:16
	v_and_b32_e32 v59, v59, v60
	v_and_b32_e32 v2, v4, v2
	;; [unrolled: 1-line block ×3, first 2 shown]
	v_mbcnt_lo_u32_b32 v4, v2, 0
	v_mbcnt_hi_u32_b32 v59, v3, v4
	v_cmp_ne_u64_e32 vcc, 0, v[2:3]
	v_cmp_eq_u32_e64 s[0:1], 0, v59
	s_and_b64 s[2:3], vcc, s[0:1]
	; wave barrier
	s_and_saveexec_b64 s[0:1], s[2:3]
	s_cbranch_execz .LBB14_241
; %bb.240:
	v_bcnt_u32_b32 v2, v2, 0
	v_bcnt_u32_b32 v2, v3, v2
	s_waitcnt lgkmcnt(0)
	v_add_u32_e32 v2, v57, v2
	ds_write_b32 v58, v2 offset:16
.LBB14_241:
	s_or_b64 exec, exec, s[0:1]
	v_xor_b32_e32 v49, 0x7fffffff, v49
	v_lshrrev_b32_e32 v2, s92, v49
	v_and_b32_e32 v3, s9, v2
	v_mul_lo_u32 v2, v3, 20
	v_and_b32_e32 v4, 1, v3
	; wave barrier
	v_lshl_add_u32 v61, v20, 2, v2
	v_add_co_u32_e32 v2, vcc, -1, v4
	v_addc_co_u32_e64 v62, s[0:1], 0, -1, vcc
	v_cmp_ne_u32_e32 vcc, 0, v4
	v_xor_b32_e32 v2, vcc_lo, v2
	v_xor_b32_e32 v4, vcc_hi, v62
	v_and_b32_e32 v62, exec_lo, v2
	v_lshlrev_b32_e32 v2, 30, v3
	v_cmp_gt_i64_e32 vcc, 0, v[1:2]
	v_not_b32_e32 v2, v2
	v_ashrrev_i32_e32 v2, 31, v2
	v_xor_b32_e32 v63, vcc_hi, v2
	v_xor_b32_e32 v2, vcc_lo, v2
	v_and_b32_e32 v62, v62, v2
	v_lshlrev_b32_e32 v2, 29, v3
	v_cmp_gt_i64_e32 vcc, 0, v[1:2]
	v_not_b32_e32 v2, v2
	v_and_b32_e32 v4, exec_hi, v4
	v_ashrrev_i32_e32 v2, 31, v2
	v_and_b32_e32 v4, v4, v63
	v_xor_b32_e32 v63, vcc_hi, v2
	v_xor_b32_e32 v2, vcc_lo, v2
	v_and_b32_e32 v62, v62, v2
	v_lshlrev_b32_e32 v2, 28, v3
	v_cmp_gt_i64_e32 vcc, 0, v[1:2]
	v_not_b32_e32 v2, v2
	v_ashrrev_i32_e32 v2, 31, v2
	v_and_b32_e32 v4, v4, v63
	v_xor_b32_e32 v63, vcc_hi, v2
	v_xor_b32_e32 v2, vcc_lo, v2
	v_and_b32_e32 v62, v62, v2
	v_lshlrev_b32_e32 v2, 27, v3
	v_cmp_gt_i64_e32 vcc, 0, v[1:2]
	v_not_b32_e32 v2, v2
	;; [unrolled: 8-line block ×5, first 2 shown]
	v_ashrrev_i32_e32 v1, 31, v1
	v_xor_b32_e32 v2, vcc_hi, v1
	v_xor_b32_e32 v1, vcc_lo, v1
	ds_read_b32 v60, v61 offset:16
	v_and_b32_e32 v4, v4, v63
	v_and_b32_e32 v1, v62, v1
	;; [unrolled: 1-line block ×3, first 2 shown]
	v_mbcnt_lo_u32_b32 v3, v1, 0
	v_mbcnt_hi_u32_b32 v62, v2, v3
	v_cmp_ne_u64_e32 vcc, 0, v[1:2]
	v_cmp_eq_u32_e64 s[0:1], 0, v62
	s_and_b64 s[2:3], vcc, s[0:1]
	; wave barrier
	s_and_saveexec_b64 s[0:1], s[2:3]
	s_cbranch_execz .LBB14_243
; %bb.242:
	v_bcnt_u32_b32 v1, v1, 0
	v_bcnt_u32_b32 v1, v2, v1
	s_waitcnt lgkmcnt(0)
	v_add_u32_e32 v1, v60, v1
	ds_write_b32 v61, v1 offset:16
.LBB14_243:
	s_or_b64 exec, exec, s[0:1]
	v_xor_b32_e32 v44, 0x7fffffff, v44
	v_lshrrev_b32_e32 v1, s92, v44
	v_and_b32_e32 v3, s9, v1
	v_mul_lo_u32 v1, v3, 20
	v_and_b32_e32 v2, 1, v3
	v_add_co_u32_e32 v4, vcc, -1, v2
	v_addc_co_u32_e64 v65, s[0:1], 0, -1, vcc
	v_cmp_ne_u32_e32 vcc, 0, v2
	v_xor_b32_e32 v2, vcc_hi, v65
	v_lshl_add_u32 v64, v20, 2, v1
	v_mov_b32_e32 v1, 0
	v_and_b32_e32 v65, exec_hi, v2
	v_lshlrev_b32_e32 v2, 30, v3
	v_xor_b32_e32 v4, vcc_lo, v4
	v_cmp_gt_i64_e32 vcc, 0, v[1:2]
	v_not_b32_e32 v2, v2
	v_ashrrev_i32_e32 v2, 31, v2
	v_and_b32_e32 v4, exec_lo, v4
	v_xor_b32_e32 v66, vcc_hi, v2
	v_xor_b32_e32 v2, vcc_lo, v2
	v_and_b32_e32 v4, v4, v2
	v_lshlrev_b32_e32 v2, 29, v3
	v_cmp_gt_i64_e32 vcc, 0, v[1:2]
	v_not_b32_e32 v2, v2
	v_ashrrev_i32_e32 v2, 31, v2
	v_and_b32_e32 v65, v65, v66
	v_xor_b32_e32 v66, vcc_hi, v2
	v_xor_b32_e32 v2, vcc_lo, v2
	v_and_b32_e32 v4, v4, v2
	v_lshlrev_b32_e32 v2, 28, v3
	v_cmp_gt_i64_e32 vcc, 0, v[1:2]
	v_not_b32_e32 v2, v2
	v_ashrrev_i32_e32 v2, 31, v2
	v_and_b32_e32 v65, v65, v66
	;; [unrolled: 8-line block ×5, first 2 shown]
	v_xor_b32_e32 v66, vcc_hi, v2
	v_xor_b32_e32 v2, vcc_lo, v2
	v_and_b32_e32 v4, v4, v2
	v_lshlrev_b32_e32 v2, 24, v3
	v_cmp_gt_i64_e32 vcc, 0, v[1:2]
	v_not_b32_e32 v2, v2
	v_ashrrev_i32_e32 v2, 31, v2
	v_xor_b32_e32 v3, vcc_hi, v2
	v_xor_b32_e32 v2, vcc_lo, v2
	; wave barrier
	ds_read_b32 v63, v64 offset:16
	v_and_b32_e32 v65, v65, v66
	v_and_b32_e32 v2, v4, v2
	;; [unrolled: 1-line block ×3, first 2 shown]
	v_mbcnt_lo_u32_b32 v4, v2, 0
	v_mbcnt_hi_u32_b32 v65, v3, v4
	v_cmp_ne_u64_e32 vcc, 0, v[2:3]
	v_cmp_eq_u32_e64 s[0:1], 0, v65
	s_and_b64 s[2:3], vcc, s[0:1]
	; wave barrier
	s_and_saveexec_b64 s[0:1], s[2:3]
	s_cbranch_execz .LBB14_245
; %bb.244:
	v_bcnt_u32_b32 v2, v2, 0
	v_bcnt_u32_b32 v2, v3, v2
	s_waitcnt lgkmcnt(0)
	v_add_u32_e32 v2, v63, v2
	ds_write_b32 v64, v2 offset:16
.LBB14_245:
	s_or_b64 exec, exec, s[0:1]
	v_xor_b32_e32 v39, 0x7fffffff, v39
	v_lshrrev_b32_e32 v2, s92, v39
	v_and_b32_e32 v3, s9, v2
	v_mul_lo_u32 v2, v3, 20
	v_and_b32_e32 v4, 1, v3
	; wave barrier
	v_lshl_add_u32 v67, v20, 2, v2
	v_add_co_u32_e32 v2, vcc, -1, v4
	v_addc_co_u32_e64 v68, s[0:1], 0, -1, vcc
	v_cmp_ne_u32_e32 vcc, 0, v4
	v_xor_b32_e32 v2, vcc_lo, v2
	v_xor_b32_e32 v4, vcc_hi, v68
	v_and_b32_e32 v68, exec_lo, v2
	v_lshlrev_b32_e32 v2, 30, v3
	v_cmp_gt_i64_e32 vcc, 0, v[1:2]
	v_not_b32_e32 v2, v2
	v_ashrrev_i32_e32 v2, 31, v2
	v_xor_b32_e32 v69, vcc_hi, v2
	v_xor_b32_e32 v2, vcc_lo, v2
	v_and_b32_e32 v68, v68, v2
	v_lshlrev_b32_e32 v2, 29, v3
	v_cmp_gt_i64_e32 vcc, 0, v[1:2]
	v_not_b32_e32 v2, v2
	v_and_b32_e32 v4, exec_hi, v4
	v_ashrrev_i32_e32 v2, 31, v2
	v_and_b32_e32 v4, v4, v69
	v_xor_b32_e32 v69, vcc_hi, v2
	v_xor_b32_e32 v2, vcc_lo, v2
	v_and_b32_e32 v68, v68, v2
	v_lshlrev_b32_e32 v2, 28, v3
	v_cmp_gt_i64_e32 vcc, 0, v[1:2]
	v_not_b32_e32 v2, v2
	v_ashrrev_i32_e32 v2, 31, v2
	v_and_b32_e32 v4, v4, v69
	v_xor_b32_e32 v69, vcc_hi, v2
	v_xor_b32_e32 v2, vcc_lo, v2
	v_and_b32_e32 v68, v68, v2
	v_lshlrev_b32_e32 v2, 27, v3
	v_cmp_gt_i64_e32 vcc, 0, v[1:2]
	v_not_b32_e32 v2, v2
	;; [unrolled: 8-line block ×5, first 2 shown]
	v_ashrrev_i32_e32 v1, 31, v1
	v_xor_b32_e32 v2, vcc_hi, v1
	v_xor_b32_e32 v1, vcc_lo, v1
	ds_read_b32 v66, v67 offset:16
	v_and_b32_e32 v4, v4, v69
	v_and_b32_e32 v1, v68, v1
	;; [unrolled: 1-line block ×3, first 2 shown]
	v_mbcnt_lo_u32_b32 v3, v1, 0
	v_mbcnt_hi_u32_b32 v69, v2, v3
	v_cmp_ne_u64_e32 vcc, 0, v[1:2]
	v_cmp_eq_u32_e64 s[0:1], 0, v69
	s_and_b64 s[2:3], vcc, s[0:1]
	; wave barrier
	s_and_saveexec_b64 s[0:1], s[2:3]
	s_cbranch_execz .LBB14_247
; %bb.246:
	v_bcnt_u32_b32 v1, v1, 0
	v_bcnt_u32_b32 v1, v2, v1
	s_waitcnt lgkmcnt(0)
	v_add_u32_e32 v1, v66, v1
	ds_write_b32 v67, v1 offset:16
.LBB14_247:
	s_or_b64 exec, exec, s[0:1]
	v_xor_b32_e32 v68, 0x7fffffff, v34
	v_lshrrev_b32_e32 v1, s92, v68
	v_and_b32_e32 v3, s9, v1
	v_mul_lo_u32 v1, v3, 20
	v_and_b32_e32 v2, 1, v3
	v_add_co_u32_e32 v4, vcc, -1, v2
	v_addc_co_u32_e64 v71, s[0:1], 0, -1, vcc
	v_cmp_ne_u32_e32 vcc, 0, v2
	v_xor_b32_e32 v2, vcc_hi, v71
	v_lshl_add_u32 v34, v20, 2, v1
	v_mov_b32_e32 v1, 0
	v_and_b32_e32 v71, exec_hi, v2
	v_lshlrev_b32_e32 v2, 30, v3
	v_xor_b32_e32 v4, vcc_lo, v4
	v_cmp_gt_i64_e32 vcc, 0, v[1:2]
	v_not_b32_e32 v2, v2
	v_ashrrev_i32_e32 v2, 31, v2
	v_and_b32_e32 v4, exec_lo, v4
	v_xor_b32_e32 v72, vcc_hi, v2
	v_xor_b32_e32 v2, vcc_lo, v2
	v_and_b32_e32 v4, v4, v2
	v_lshlrev_b32_e32 v2, 29, v3
	v_cmp_gt_i64_e32 vcc, 0, v[1:2]
	v_not_b32_e32 v2, v2
	v_ashrrev_i32_e32 v2, 31, v2
	v_and_b32_e32 v71, v71, v72
	v_xor_b32_e32 v72, vcc_hi, v2
	v_xor_b32_e32 v2, vcc_lo, v2
	v_and_b32_e32 v4, v4, v2
	v_lshlrev_b32_e32 v2, 28, v3
	v_cmp_gt_i64_e32 vcc, 0, v[1:2]
	v_not_b32_e32 v2, v2
	v_ashrrev_i32_e32 v2, 31, v2
	v_and_b32_e32 v71, v71, v72
	;; [unrolled: 8-line block ×5, first 2 shown]
	v_xor_b32_e32 v72, vcc_hi, v2
	v_xor_b32_e32 v2, vcc_lo, v2
	v_and_b32_e32 v4, v4, v2
	v_lshlrev_b32_e32 v2, 24, v3
	v_cmp_gt_i64_e32 vcc, 0, v[1:2]
	v_not_b32_e32 v2, v2
	v_ashrrev_i32_e32 v2, 31, v2
	v_xor_b32_e32 v3, vcc_hi, v2
	v_xor_b32_e32 v2, vcc_lo, v2
	; wave barrier
	ds_read_b32 v70, v34 offset:16
	v_and_b32_e32 v71, v71, v72
	v_and_b32_e32 v2, v4, v2
	;; [unrolled: 1-line block ×3, first 2 shown]
	v_mbcnt_lo_u32_b32 v4, v2, 0
	v_mbcnt_hi_u32_b32 v72, v3, v4
	v_cmp_ne_u64_e32 vcc, 0, v[2:3]
	v_cmp_eq_u32_e64 s[0:1], 0, v72
	s_and_b64 s[2:3], vcc, s[0:1]
	; wave barrier
	s_and_saveexec_b64 s[0:1], s[2:3]
	s_cbranch_execz .LBB14_249
; %bb.248:
	v_bcnt_u32_b32 v2, v2, 0
	v_bcnt_u32_b32 v2, v3, v2
	s_waitcnt lgkmcnt(0)
	v_add_u32_e32 v2, v70, v2
	ds_write_b32 v34, v2 offset:16
.LBB14_249:
	s_or_b64 exec, exec, s[0:1]
	v_xor_b32_e32 v71, 0x7fffffff, v29
	v_lshrrev_b32_e32 v2, s92, v71
	v_and_b32_e32 v3, s9, v2
	v_mul_lo_u32 v2, v3, 20
	v_and_b32_e32 v4, 1, v3
	; wave barrier
	v_lshl_add_u32 v29, v20, 2, v2
	v_add_co_u32_e32 v2, vcc, -1, v4
	v_addc_co_u32_e64 v74, s[0:1], 0, -1, vcc
	v_cmp_ne_u32_e32 vcc, 0, v4
	v_xor_b32_e32 v2, vcc_lo, v2
	v_xor_b32_e32 v4, vcc_hi, v74
	v_and_b32_e32 v74, exec_lo, v2
	v_lshlrev_b32_e32 v2, 30, v3
	v_cmp_gt_i64_e32 vcc, 0, v[1:2]
	v_not_b32_e32 v2, v2
	v_ashrrev_i32_e32 v2, 31, v2
	v_xor_b32_e32 v75, vcc_hi, v2
	v_xor_b32_e32 v2, vcc_lo, v2
	v_and_b32_e32 v74, v74, v2
	v_lshlrev_b32_e32 v2, 29, v3
	v_cmp_gt_i64_e32 vcc, 0, v[1:2]
	v_not_b32_e32 v2, v2
	v_and_b32_e32 v4, exec_hi, v4
	v_ashrrev_i32_e32 v2, 31, v2
	v_and_b32_e32 v4, v4, v75
	v_xor_b32_e32 v75, vcc_hi, v2
	v_xor_b32_e32 v2, vcc_lo, v2
	v_and_b32_e32 v74, v74, v2
	v_lshlrev_b32_e32 v2, 28, v3
	v_cmp_gt_i64_e32 vcc, 0, v[1:2]
	v_not_b32_e32 v2, v2
	v_ashrrev_i32_e32 v2, 31, v2
	v_and_b32_e32 v4, v4, v75
	v_xor_b32_e32 v75, vcc_hi, v2
	v_xor_b32_e32 v2, vcc_lo, v2
	v_and_b32_e32 v74, v74, v2
	v_lshlrev_b32_e32 v2, 27, v3
	v_cmp_gt_i64_e32 vcc, 0, v[1:2]
	v_not_b32_e32 v2, v2
	;; [unrolled: 8-line block ×5, first 2 shown]
	v_ashrrev_i32_e32 v1, 31, v1
	v_xor_b32_e32 v2, vcc_hi, v1
	v_xor_b32_e32 v1, vcc_lo, v1
	ds_read_b32 v73, v29 offset:16
	v_and_b32_e32 v4, v4, v75
	v_and_b32_e32 v1, v74, v1
	;; [unrolled: 1-line block ×3, first 2 shown]
	v_mbcnt_lo_u32_b32 v3, v1, 0
	v_mbcnt_hi_u32_b32 v76, v2, v3
	v_cmp_ne_u64_e32 vcc, 0, v[1:2]
	v_cmp_eq_u32_e64 s[0:1], 0, v76
	s_and_b64 s[2:3], vcc, s[0:1]
	; wave barrier
	s_and_saveexec_b64 s[0:1], s[2:3]
	s_cbranch_execz .LBB14_251
; %bb.250:
	v_bcnt_u32_b32 v1, v1, 0
	v_bcnt_u32_b32 v1, v2, v1
	s_waitcnt lgkmcnt(0)
	v_add_u32_e32 v1, v73, v1
	ds_write_b32 v29, v1 offset:16
.LBB14_251:
	s_or_b64 exec, exec, s[0:1]
	v_xor_b32_e32 v75, 0x7fffffff, v24
	v_lshrrev_b32_e32 v1, s92, v75
	v_and_b32_e32 v3, s9, v1
	v_mul_lo_u32 v1, v3, 20
	v_and_b32_e32 v2, 1, v3
	v_add_co_u32_e32 v4, vcc, -1, v2
	v_addc_co_u32_e64 v74, s[0:1], 0, -1, vcc
	v_cmp_ne_u32_e32 vcc, 0, v2
	v_xor_b32_e32 v2, vcc_hi, v74
	v_lshl_add_u32 v24, v20, 2, v1
	v_mov_b32_e32 v1, 0
	v_and_b32_e32 v74, exec_hi, v2
	v_lshlrev_b32_e32 v2, 30, v3
	v_xor_b32_e32 v4, vcc_lo, v4
	v_cmp_gt_i64_e32 vcc, 0, v[1:2]
	v_not_b32_e32 v2, v2
	v_ashrrev_i32_e32 v2, 31, v2
	v_and_b32_e32 v4, exec_lo, v4
	v_xor_b32_e32 v78, vcc_hi, v2
	v_xor_b32_e32 v2, vcc_lo, v2
	v_and_b32_e32 v4, v4, v2
	v_lshlrev_b32_e32 v2, 29, v3
	v_cmp_gt_i64_e32 vcc, 0, v[1:2]
	v_not_b32_e32 v2, v2
	v_ashrrev_i32_e32 v2, 31, v2
	v_and_b32_e32 v74, v74, v78
	v_xor_b32_e32 v78, vcc_hi, v2
	v_xor_b32_e32 v2, vcc_lo, v2
	v_and_b32_e32 v4, v4, v2
	v_lshlrev_b32_e32 v2, 28, v3
	v_cmp_gt_i64_e32 vcc, 0, v[1:2]
	v_not_b32_e32 v2, v2
	v_ashrrev_i32_e32 v2, 31, v2
	v_and_b32_e32 v74, v74, v78
	;; [unrolled: 8-line block ×5, first 2 shown]
	v_xor_b32_e32 v78, vcc_hi, v2
	v_xor_b32_e32 v2, vcc_lo, v2
	v_and_b32_e32 v4, v4, v2
	v_lshlrev_b32_e32 v2, 24, v3
	v_cmp_gt_i64_e32 vcc, 0, v[1:2]
	v_not_b32_e32 v2, v2
	v_ashrrev_i32_e32 v2, 31, v2
	v_xor_b32_e32 v3, vcc_hi, v2
	v_xor_b32_e32 v2, vcc_lo, v2
	; wave barrier
	ds_read_b32 v77, v24 offset:16
	v_and_b32_e32 v74, v74, v78
	v_and_b32_e32 v2, v4, v2
	v_and_b32_e32 v3, v74, v3
	v_mbcnt_lo_u32_b32 v4, v2, 0
	v_mbcnt_hi_u32_b32 v79, v3, v4
	v_cmp_ne_u64_e32 vcc, 0, v[2:3]
	v_cmp_eq_u32_e64 s[0:1], 0, v79
	s_and_b64 s[2:3], vcc, s[0:1]
	; wave barrier
	s_and_saveexec_b64 s[0:1], s[2:3]
	s_cbranch_execz .LBB14_253
; %bb.252:
	v_bcnt_u32_b32 v2, v2, 0
	v_bcnt_u32_b32 v2, v3, v2
	s_waitcnt lgkmcnt(0)
	v_add_u32_e32 v2, v77, v2
	ds_write_b32 v24, v2 offset:16
.LBB14_253:
	s_or_b64 exec, exec, s[0:1]
	v_xor_b32_e32 v78, 0x7fffffff, v18
	v_lshrrev_b32_e32 v2, s92, v78
	v_and_b32_e32 v3, s9, v2
	v_mul_lo_u32 v2, v3, 20
	v_and_b32_e32 v4, 1, v3
	; wave barrier
	v_lshl_add_u32 v18, v20, 2, v2
	v_add_co_u32_e32 v2, vcc, -1, v4
	v_addc_co_u32_e64 v20, s[0:1], 0, -1, vcc
	v_cmp_ne_u32_e32 vcc, 0, v4
	v_xor_b32_e32 v2, vcc_lo, v2
	v_xor_b32_e32 v4, vcc_hi, v20
	v_and_b32_e32 v20, exec_lo, v2
	v_lshlrev_b32_e32 v2, 30, v3
	v_cmp_gt_i64_e32 vcc, 0, v[1:2]
	v_not_b32_e32 v2, v2
	v_ashrrev_i32_e32 v2, 31, v2
	v_xor_b32_e32 v74, vcc_hi, v2
	v_xor_b32_e32 v2, vcc_lo, v2
	v_and_b32_e32 v20, v20, v2
	v_lshlrev_b32_e32 v2, 29, v3
	v_cmp_gt_i64_e32 vcc, 0, v[1:2]
	v_not_b32_e32 v2, v2
	v_and_b32_e32 v4, exec_hi, v4
	v_ashrrev_i32_e32 v2, 31, v2
	v_and_b32_e32 v4, v4, v74
	v_xor_b32_e32 v74, vcc_hi, v2
	v_xor_b32_e32 v2, vcc_lo, v2
	v_and_b32_e32 v20, v20, v2
	v_lshlrev_b32_e32 v2, 28, v3
	v_cmp_gt_i64_e32 vcc, 0, v[1:2]
	v_not_b32_e32 v2, v2
	v_ashrrev_i32_e32 v2, 31, v2
	v_and_b32_e32 v4, v4, v74
	v_xor_b32_e32 v74, vcc_hi, v2
	v_xor_b32_e32 v2, vcc_lo, v2
	v_and_b32_e32 v20, v20, v2
	v_lshlrev_b32_e32 v2, 27, v3
	v_cmp_gt_i64_e32 vcc, 0, v[1:2]
	v_not_b32_e32 v2, v2
	;; [unrolled: 8-line block ×5, first 2 shown]
	v_ashrrev_i32_e32 v1, 31, v1
	v_xor_b32_e32 v2, vcc_hi, v1
	v_xor_b32_e32 v1, vcc_lo, v1
	ds_read_b32 v80, v18 offset:16
	v_and_b32_e32 v4, v4, v74
	v_and_b32_e32 v1, v20, v1
	;; [unrolled: 1-line block ×3, first 2 shown]
	v_mbcnt_lo_u32_b32 v3, v1, 0
	v_mbcnt_hi_u32_b32 v81, v2, v3
	v_cmp_ne_u64_e32 vcc, 0, v[1:2]
	v_cmp_eq_u32_e64 s[0:1], 0, v81
	s_and_b64 s[2:3], vcc, s[0:1]
	; wave barrier
	s_and_saveexec_b64 s[0:1], s[2:3]
	s_cbranch_execz .LBB14_255
; %bb.254:
	v_bcnt_u32_b32 v1, v1, 0
	v_bcnt_u32_b32 v1, v2, v1
	s_waitcnt lgkmcnt(0)
	v_add_u32_e32 v1, v80, v1
	ds_write_b32 v18, v1 offset:16
.LBB14_255:
	s_or_b64 exec, exec, s[0:1]
	; wave barrier
	s_waitcnt lgkmcnt(0)
	s_barrier
	ds_read2_b32 v[3:4], v6 offset0:4 offset1:5
	ds_read2_b32 v[1:2], v6 offset0:6 offset1:7
	ds_read_b32 v20, v6 offset:32
	v_min_u32_e32 v9, 0xc0, v9
	v_or_b32_e32 v9, 63, v9
	s_waitcnt lgkmcnt(1)
	v_add3_u32 v74, v4, v3, v1
	s_waitcnt lgkmcnt(0)
	v_add3_u32 v20, v74, v2, v20
	v_and_b32_e32 v74, 15, v8
	v_cmp_ne_u32_e32 vcc, 0, v74
	v_mov_b32_dpp v82, v20 row_shr:1 row_mask:0xf bank_mask:0xf
	v_cndmask_b32_e32 v82, 0, v82, vcc
	v_add_u32_e32 v20, v82, v20
	v_cmp_lt_u32_e32 vcc, 1, v74
	s_nop 0
	v_mov_b32_dpp v82, v20 row_shr:2 row_mask:0xf bank_mask:0xf
	v_cndmask_b32_e32 v82, 0, v82, vcc
	v_add_u32_e32 v20, v20, v82
	v_cmp_lt_u32_e32 vcc, 3, v74
	s_nop 0
	;; [unrolled: 5-line block ×3, first 2 shown]
	v_mov_b32_dpp v82, v20 row_shr:8 row_mask:0xf bank_mask:0xf
	v_cndmask_b32_e32 v74, 0, v82, vcc
	v_add_u32_e32 v20, v20, v74
	v_bfe_i32 v82, v8, 4, 1
	v_cmp_lt_u32_e32 vcc, 31, v8
	v_mov_b32_dpp v74, v20 row_bcast:15 row_mask:0xf bank_mask:0xf
	v_and_b32_e32 v74, v82, v74
	v_add_u32_e32 v20, v20, v74
	v_lshrrev_b32_e32 v82, 6, v0
	s_nop 0
	v_mov_b32_dpp v74, v20 row_bcast:31 row_mask:0xf bank_mask:0xf
	v_cndmask_b32_e32 v74, 0, v74, vcc
	v_add_u32_e32 v20, v20, v74
	v_cmp_eq_u32_e32 vcc, v0, v9
	s_and_saveexec_b64 s[0:1], vcc
; %bb.256:
	v_lshlrev_b32_e32 v9, 2, v82
	ds_write_b32 v9, v20
; %bb.257:
	s_or_b64 exec, exec, s[0:1]
	v_cmp_gt_u32_e32 vcc, 4, v0
	v_lshlrev_b32_e32 v74, 2, v0
	s_waitcnt lgkmcnt(0)
	s_barrier
	s_and_saveexec_b64 s[0:1], vcc
	s_cbranch_execz .LBB14_259
; %bb.258:
	ds_read_b32 v9, v74
	v_and_b32_e32 v83, 3, v8
	v_cmp_ne_u32_e32 vcc, 0, v83
	s_waitcnt lgkmcnt(0)
	v_mov_b32_dpp v84, v9 row_shr:1 row_mask:0xf bank_mask:0xf
	v_cndmask_b32_e32 v84, 0, v84, vcc
	v_add_u32_e32 v9, v84, v9
	v_cmp_lt_u32_e32 vcc, 1, v83
	s_nop 0
	v_mov_b32_dpp v84, v9 row_shr:2 row_mask:0xf bank_mask:0xf
	v_cndmask_b32_e32 v83, 0, v84, vcc
	v_add_u32_e32 v9, v9, v83
	ds_write_b32 v74, v9
.LBB14_259:
	s_or_b64 exec, exec, s[0:1]
	v_cmp_lt_u32_e32 vcc, 63, v0
	v_mov_b32_e32 v9, 0
	s_waitcnt lgkmcnt(0)
	s_barrier
	s_and_saveexec_b64 s[0:1], vcc
; %bb.260:
	v_lshl_add_u32 v9, v82, 2, -4
	ds_read_b32 v9, v9
; %bb.261:
	s_or_b64 exec, exec, s[0:1]
	v_add_u32_e32 v82, -1, v8
	v_and_b32_e32 v83, 64, v8
	v_cmp_lt_i32_e32 vcc, v82, v83
	v_cndmask_b32_e32 v82, v82, v8, vcc
	s_waitcnt lgkmcnt(0)
	v_add_u32_e32 v20, v9, v20
	v_lshlrev_b32_e32 v82, 2, v82
	ds_bpermute_b32 v20, v82, v20
	v_cmp_eq_u32_e32 vcc, 0, v8
	s_movk_i32 s0, 0x100
	s_waitcnt lgkmcnt(0)
	v_cndmask_b32_e32 v9, v20, v9, vcc
	v_cmp_ne_u32_e32 vcc, 0, v0
	v_cndmask_b32_e32 v9, 0, v9, vcc
	v_add_u32_e32 v3, v9, v3
	v_add_u32_e32 v4, v3, v4
	;; [unrolled: 1-line block ×4, first 2 shown]
	ds_write2_b32 v6, v9, v3 offset0:4 offset1:5
	ds_write2_b32 v6, v4, v1 offset0:6 offset1:7
	ds_write_b32 v6, v2 offset:32
	s_waitcnt lgkmcnt(0)
	s_barrier
	ds_read_b32 v2, v45 offset:16
	ds_read_b32 v3, v50 offset:16
	ds_read_b32 v4, v55 offset:16
	ds_read_b32 v20, v58 offset:16
	ds_read_b32 v45, v61 offset:16
	ds_read_b32 v50, v64 offset:16
	ds_read_b32 v55, v67 offset:16
	ds_read_b32 v58, v34 offset:16
	ds_read_b32 v61, v29 offset:16
	ds_read_b32 v64, v24 offset:16
	ds_read_b32 v67, v18 offset:16
	ds_read_b32 v10, v10 offset:16
	ds_read_b32 v14, v14 offset:16
	ds_read_b32 v18, v19 offset:16
	ds_read_b32 v19, v25 offset:16
	ds_read_b32 v24, v30 offset:16
	ds_read_b32 v25, v35 offset:16
	ds_read_b32 v40, v40 offset:16
	ds_read_b32 v9, v6 offset:16
	v_add_u32_e32 v6, 1, v0
	v_cmp_ne_u32_e32 vcc, s0, v6
	v_mov_b32_e32 v1, 0x1200
	s_and_saveexec_b64 s[0:1], vcc
; %bb.262:
	v_mul_u32_u24_e32 v1, 20, v6
	ds_read_b32 v1, v1 offset:16
; %bb.263:
	s_or_b64 exec, exec, s[0:1]
	s_waitcnt lgkmcnt(7)
	v_add_u32_e32 v35, v10, v12
	s_waitcnt lgkmcnt(6)
	v_add3_u32 v34, v16, v13, v14
	s_waitcnt lgkmcnt(3)
	v_add3_u32 v28, v32, v28, v24
	v_add3_u32 v24, v47, v43, v2
	v_lshlrev_b32_e32 v2, 2, v35
	v_add3_u32 v30, v22, v17, v18
	s_waitcnt lgkmcnt(0)
	s_barrier
	ds_write_b32 v2, v5 offset:2048
	v_lshlrev_b32_e32 v2, 2, v34
	v_add3_u32 v29, v27, v23, v19
	ds_write_b32 v2, v11 offset:2048
	v_lshlrev_b32_e32 v2, 2, v30
	ds_write_b32 v2, v15 offset:2048
	v_lshlrev_b32_e32 v2, 2, v29
	v_add3_u32 v27, v37, v33, v25
	ds_write_b32 v2, v21 offset:2048
	v_lshlrev_b32_e32 v2, 2, v28
	v_add3_u32 v25, v42, v38, v40
	ds_write_b32 v2, v26 offset:2048
	v_lshlrev_b32_e32 v2, 2, v27
	ds_write_b32 v2, v31 offset:2048
	v_lshlrev_b32_e32 v2, 2, v25
	v_add3_u32 v23, v52, v48, v3
	ds_write_b32 v2, v36 offset:2048
	v_lshlrev_b32_e32 v2, 2, v24
	v_add3_u32 v22, v56, v53, v4
	;; [unrolled: 3-line block ×10, first 2 shown]
	ds_write_b32 v2, v71 offset:2048
	v_lshlrev_b32_e32 v2, 2, v13
	ds_write_b32 v2, v75 offset:2048
	v_lshlrev_b32_e32 v2, 2, v12
	ds_write_b32 v2, v78 offset:2048
	v_sub_u32_e32 v10, v1, v9
	v_lshl_or_b32 v1, s6, 8, v0
	v_mov_b32_e32 v2, 0
	v_lshlrev_b64 v[3:4], 2, v[1:2]
	v_mov_b32_e32 v15, s89
	v_add_co_u32_e32 v3, vcc, s88, v3
	v_addc_co_u32_e32 v4, vcc, v15, v4, vcc
	v_or_b32_e32 v1, 2.0, v10
	s_mov_b64 s[0:1], 0
	s_brev_b32 s10, -4
	v_mov_b32_e32 v11, 0
	s_waitcnt lgkmcnt(0)
	s_barrier
	global_store_dword v[3:4], v1, off
                                        ; implicit-def: $sgpr2_sgpr3
	s_branch .LBB14_266
.LBB14_264:                             ;   in Loop: Header=BB14_266 Depth=1
	s_or_b64 exec, exec, s[4:5]
.LBB14_265:                             ;   in Loop: Header=BB14_266 Depth=1
	s_or_b64 exec, exec, s[2:3]
	v_and_b32_e32 v5, 0x3fffffff, v1
	v_add_u32_e32 v11, v5, v11
	v_cmp_gt_i32_e64 s[2:3], -2.0, v1
	s_and_b64 s[4:5], exec, s[2:3]
	s_or_b64 s[0:1], s[4:5], s[0:1]
	s_andn2_b64 exec, exec, s[0:1]
	s_cbranch_execz .LBB14_271
.LBB14_266:                             ; =>This Loop Header: Depth=1
                                        ;     Child Loop BB14_269 Depth 2
	s_or_b64 s[2:3], s[2:3], exec
	s_cmp_eq_u32 s7, 0
	s_cbranch_scc1 .LBB14_270
; %bb.267:                              ;   in Loop: Header=BB14_266 Depth=1
	s_add_i32 s7, s7, -1
	v_lshl_or_b32 v1, s7, 8, v0
	v_lshlrev_b64 v[5:6], 2, v[1:2]
	v_add_co_u32_e32 v5, vcc, s88, v5
	v_addc_co_u32_e32 v6, vcc, v15, v6, vcc
	global_load_dword v1, v[5:6], off glc
	s_waitcnt vmcnt(0)
	v_cmp_gt_u32_e32 vcc, 2.0, v1
	s_and_saveexec_b64 s[2:3], vcc
	s_cbranch_execz .LBB14_265
; %bb.268:                              ;   in Loop: Header=BB14_266 Depth=1
	s_mov_b64 s[4:5], 0
.LBB14_269:                             ;   Parent Loop BB14_266 Depth=1
                                        ; =>  This Inner Loop Header: Depth=2
	global_load_dword v1, v[5:6], off glc
	s_waitcnt vmcnt(0)
	v_cmp_lt_u32_e32 vcc, s10, v1
	s_or_b64 s[4:5], vcc, s[4:5]
	s_andn2_b64 exec, exec, s[4:5]
	s_cbranch_execnz .LBB14_269
	s_branch .LBB14_264
.LBB14_270:                             ;   in Loop: Header=BB14_266 Depth=1
                                        ; implicit-def: $sgpr7
	s_and_b64 s[4:5], exec, s[2:3]
	s_or_b64 s[0:1], s[4:5], s[0:1]
	s_andn2_b64 exec, exec, s[0:1]
	s_cbranch_execnz .LBB14_266
.LBB14_271:
	s_or_b64 exec, exec, s[0:1]
	v_add_u32_e32 v2, v11, v10
	v_or_b32_e32 v2, 0x80000000, v2
	v_readlane_b32 s0, v88, 0
	v_lshlrev_b32_e32 v1, 3, v0
	global_store_dword v[3:4], v2, off
	v_readlane_b32 s1, v88, 1
	v_sub_co_u32_e32 v4, vcc, v11, v9
	v_sub_u32_e32 v51, v1, v74
	v_mov_b32_e32 v6, s83
	v_mov_b32_e32 v11, s83
	s_nop 0
	global_load_dwordx2 v[2:3], v1, s[0:1]
	v_subb_co_u32_e64 v5, s[0:1], 0, 0, vcc
	v_mov_b32_e32 v15, s83
	v_mov_b32_e32 v21, s83
	;; [unrolled: 1-line block ×3, first 2 shown]
	s_lshl_b64 s[0:1], s[78:79], 1
	s_add_u32 s0, s84, s0
	s_addc_u32 s1, s85, s1
	v_lshlrev_b32_e32 v8, 1, v8
	v_lshlrev_b32_e32 v7, 1, v7
	v_or_b32_e32 v62, 0xf00, v0
	v_lshlrev_b32_e32 v70, 2, v62
	v_mov_b32_e32 v73, s83
	s_add_i32 s8, s8, -1
	v_readlane_b32 s2, v88, 2
	v_readlane_b32 s3, v88, 3
	s_cmp_lg_u32 s6, s8
	s_waitcnt vmcnt(0)
	v_add_co_u32_e32 v2, vcc, v4, v2
	v_addc_co_u32_e32 v3, vcc, v5, v3, vcc
	ds_write_b64 v1, v[2:3]
	s_waitcnt lgkmcnt(0)
	s_barrier
	ds_read2st64_b32 v[2:3], v51 offset0:8 offset1:12
	ds_read2st64_b32 v[4:5], v51 offset0:16 offset1:20
	;; [unrolled: 1-line block ×4, first 2 shown]
	s_waitcnt lgkmcnt(2)
	v_xor_b32_e32 v49, 0x7fffffff, v4
	v_lshrrev_b32_e32 v26, s92, v2
	v_xor_b32_e32 v33, 0x7fffffff, v2
	v_lshrrev_b32_e32 v2, s92, v3
	;; [unrolled: 2-line block ×3, first 2 shown]
	v_lshrrev_b32_e32 v4, s92, v5
	v_xor_b32_e32 v50, 0x7fffffff, v5
	s_waitcnt lgkmcnt(1)
	v_lshrrev_b32_e32 v5, s92, v31
	v_lshrrev_b32_e32 v38, s92, v32
	s_waitcnt lgkmcnt(0)
	v_lshrrev_b32_e32 v39, s92, v36
	v_lshrrev_b32_e32 v40, s92, v37
	v_and_b32_e32 v26, s9, v26
	v_and_b32_e32 v2, s9, v2
	;; [unrolled: 1-line block ×8, first 2 shown]
	v_lshlrev_b32_e32 v52, 3, v26
	v_lshlrev_b32_e32 v53, 3, v2
	;; [unrolled: 1-line block ×8, first 2 shown]
	ds_read_b64 v[38:39], v52
	ds_read_b64 v[40:41], v53
	;; [unrolled: 1-line block ×5, first 2 shown]
	s_waitcnt lgkmcnt(4)
	v_lshlrev_b64 v[38:39], 2, v[38:39]
	s_waitcnt lgkmcnt(3)
	v_lshlrev_b64 v[40:41], 2, v[40:41]
	v_add_co_u32_e32 v26, vcc, s82, v38
	v_addc_co_u32_e32 v6, vcc, v6, v39, vcc
	s_waitcnt lgkmcnt(2)
	v_lshlrev_b64 v[42:43], 2, v[42:43]
	v_add_co_u32_e32 v40, vcc, s82, v40
	v_addc_co_u32_e32 v11, vcc, v11, v41, vcc
	;; [unrolled: 4-line block ×3, first 2 shown]
	v_add_co_u32_e32 v44, vcc, s82, v44
	v_addc_co_u32_e32 v21, vcc, v21, v45, vcc
	v_add_co_u32_e32 v38, vcc, v26, v74
	v_addc_co_u32_e32 v39, vcc, 0, v6, vcc
	;; [unrolled: 2-line block ×5, first 2 shown]
	global_store_dword v[38:39], v33, off
	global_store_dword v[40:41], v48, off offset:1024
	global_store_dword v[42:43], v49, off offset:2048
	;; [unrolled: 1-line block ×3, first 2 shown]
	s_waitcnt lgkmcnt(0)
	v_lshlrev_b64 v[44:45], 2, v[46:47]
	v_mov_b32_e32 v6, s83
	v_add_co_u32_e32 v11, vcc, s82, v44
	ds_read_b64 v[38:39], v2
	ds_read_b64 v[40:41], v3
	;; [unrolled: 1-line block ×3, first 2 shown]
	v_addc_co_u32_e32 v6, vcc, v6, v45, vcc
	v_or_b32_e32 v15, 0x1000, v74
	v_add_co_u32_e32 v44, vcc, v11, v15
	v_xor_b32_e32 v31, 0x7fffffff, v31
	v_addc_co_u32_e32 v45, vcc, 0, v6, vcc
	global_store_dword v[44:45], v31, off
	v_xor_b32_e32 v6, 0x7fffffff, v32
	s_waitcnt lgkmcnt(2)
	v_lshlrev_b64 v[31:32], 2, v[38:39]
	v_mov_b32_e32 v11, s83
	v_add_co_u32_e32 v15, vcc, s82, v31
	v_addc_co_u32_e32 v11, vcc, v11, v32, vcc
	v_or_b32_e32 v21, 0x1400, v74
	v_add_co_u32_e32 v31, vcc, v15, v21
	v_addc_co_u32_e32 v32, vcc, 0, v11, vcc
	global_store_dword v[31:32], v6, off
	s_waitcnt lgkmcnt(1)
	v_lshlrev_b64 v[31:32], 2, v[40:41]
	v_mov_b32_e32 v11, s83
	v_add_co_u32_e32 v15, vcc, s82, v31
	v_addc_co_u32_e32 v11, vcc, v11, v32, vcc
	v_or_b32_e32 v21, 0x1800, v74
	v_add_co_u32_e32 v31, vcc, v15, v21
	v_xor_b32_e32 v6, 0x7fffffff, v36
	v_addc_co_u32_e32 v32, vcc, 0, v11, vcc
	global_store_dword v[31:32], v6, off
	s_waitcnt lgkmcnt(0)
	v_lshlrev_b64 v[31:32], 2, v[42:43]
	v_mov_b32_e32 v11, s83
	v_add_co_u32_e32 v15, vcc, s82, v31
	v_addc_co_u32_e32 v11, vcc, v11, v32, vcc
	ds_read2st64_b32 v[32:33], v51 offset0:40 offset1:44
	v_or_b32_e32 v21, 0x1c00, v74
	v_add_co_u32_e32 v36, vcc, v15, v21
	v_xor_b32_e32 v6, 0x7fffffff, v37
	v_addc_co_u32_e32 v37, vcc, 0, v11, vcc
	s_waitcnt lgkmcnt(0)
	v_lshrrev_b32_e32 v11, s92, v32
	global_store_dword v[36:37], v6, off
	v_and_b32_e32 v11, s9, v11
	v_lshlrev_b32_e32 v11, 3, v11
	ds_read2st64_b32 v[36:37], v51 offset0:48 offset1:52
	ds_read_b64 v[38:39], v11
	v_lshrrev_b32_e32 v15, s92, v33
	v_and_b32_e32 v15, s9, v15
	v_or_b32_e32 v6, 0x800, v0
	s_waitcnt lgkmcnt(1)
	v_lshrrev_b32_e32 v31, s92, v37
	s_waitcnt lgkmcnt(0)
	v_lshlrev_b64 v[38:39], 2, v[38:39]
	v_lshrrev_b32_e32 v21, s92, v36
	v_and_b32_e32 v31, s9, v31
	v_xor_b32_e32 v26, 0x7fffffff, v32
	v_lshlrev_b32_e32 v15, 3, v15
	v_and_b32_e32 v21, s9, v21
	v_lshlrev_b32_e32 v32, 3, v31
	v_mov_b32_e32 v31, s83
	v_add_co_u32_e32 v38, vcc, s82, v38
	v_lshlrev_b32_e32 v21, 3, v21
	ds_read_b64 v[40:41], v15
	ds_read_b64 v[42:43], v21
	;; [unrolled: 1-line block ×3, first 2 shown]
	v_addc_co_u32_e32 v31, vcc, v31, v39, vcc
	v_lshlrev_b32_e32 v39, 2, v6
	v_add_co_u32_e32 v38, vcc, v38, v39
	v_addc_co_u32_e32 v39, vcc, 0, v31, vcc
	global_store_dword v[38:39], v26, off
	s_waitcnt lgkmcnt(2)
	v_lshlrev_b64 v[38:39], 2, v[40:41]
	v_or_b32_e32 v31, 0x900, v0
	v_xor_b32_e32 v26, 0x7fffffff, v33
	v_mov_b32_e32 v33, s83
	v_add_co_u32_e32 v38, vcc, s82, v38
	v_addc_co_u32_e32 v33, vcc, v33, v39, vcc
	v_lshlrev_b32_e32 v39, 2, v31
	v_add_co_u32_e32 v38, vcc, v38, v39
	v_addc_co_u32_e32 v39, vcc, 0, v33, vcc
	global_store_dword v[38:39], v26, off
	s_waitcnt lgkmcnt(1)
	v_lshlrev_b64 v[38:39], 2, v[42:43]
	v_or_b32_e32 v33, 0xa00, v0
	v_xor_b32_e32 v26, 0x7fffffff, v36
	v_mov_b32_e32 v36, s83
	v_add_co_u32_e32 v38, vcc, s82, v38
	v_addc_co_u32_e32 v36, vcc, v36, v39, vcc
	v_lshlrev_b32_e32 v39, 2, v33
	v_add_co_u32_e32 v38, vcc, v38, v39
	v_addc_co_u32_e32 v39, vcc, 0, v36, vcc
	global_store_dword v[38:39], v26, off
	v_xor_b32_e32 v38, 0x7fffffff, v37
	s_waitcnt lgkmcnt(0)
	v_lshlrev_b64 v[36:37], 2, v[44:45]
	v_mov_b32_e32 v39, s83
	v_add_co_u32_e32 v36, vcc, s82, v36
	v_addc_co_u32_e32 v37, vcc, v39, v37, vcc
	ds_read2st64_b32 v[39:40], v51 offset0:56 offset1:60
	v_or_b32_e32 v26, 0xb00, v0
	v_lshlrev_b32_e32 v41, 2, v26
	v_add_co_u32_e32 v36, vcc, v36, v41
	v_addc_co_u32_e32 v37, vcc, 0, v37, vcc
	global_store_dword v[36:37], v38, off
	s_waitcnt lgkmcnt(0)
	v_lshrrev_b32_e32 v37, s92, v39
	v_and_b32_e32 v37, s9, v37
	v_lshlrev_b32_e32 v37, 3, v37
	ds_read2st64_b32 v[41:42], v51 offset0:64 offset1:68
	ds_read_b64 v[43:44], v37
	v_lshrrev_b32_e32 v38, s92, v40
	v_xor_b32_e32 v56, 0x7fffffff, v39
	v_and_b32_e32 v38, s9, v38
	s_waitcnt lgkmcnt(1)
	v_lshrrev_b32_e32 v39, s92, v41
	s_waitcnt lgkmcnt(0)
	v_lshlrev_b64 v[43:44], 2, v[43:44]
	v_lshrrev_b32_e32 v45, s92, v42
	v_or_b32_e32 v36, 0xc00, v0
	v_lshlrev_b32_e32 v38, 3, v38
	v_and_b32_e32 v39, s9, v39
	v_and_b32_e32 v45, s9, v45
	v_add_co_u32_e32 v43, vcc, s82, v43
	v_lshlrev_b32_e32 v39, 3, v39
	v_lshlrev_b32_e32 v57, 3, v45
	ds_read_b64 v[45:46], v38
	ds_read_b64 v[47:48], v39
	;; [unrolled: 1-line block ×3, first 2 shown]
	v_addc_co_u32_e32 v44, vcc, v58, v44, vcc
	v_lshlrev_b32_e32 v58, 2, v36
	v_add_co_u32_e32 v43, vcc, v43, v58
	v_addc_co_u32_e32 v44, vcc, 0, v44, vcc
	global_store_dword v[43:44], v56, off
	s_waitcnt lgkmcnt(2)
	v_lshlrev_b64 v[43:44], 2, v[45:46]
	v_or_b32_e32 v56, 0xd00, v0
	v_mov_b32_e32 v45, s83
	v_add_co_u32_e32 v43, vcc, s82, v43
	v_addc_co_u32_e32 v44, vcc, v45, v44, vcc
	v_lshlrev_b32_e32 v45, 2, v56
	v_add_co_u32_e32 v43, vcc, v43, v45
	v_addc_co_u32_e32 v44, vcc, 0, v44, vcc
	v_mov_b32_e32 v46, s1
	v_add_co_u32_e32 v8, vcc, s0, v8
	v_xor_b32_e32 v40, 0x7fffffff, v40
	v_addc_co_u32_e32 v46, vcc, 0, v46, vcc
	global_store_dword v[43:44], v40, off
	v_xor_b32_e32 v43, 0x7fffffff, v41
	s_waitcnt lgkmcnt(1)
	v_lshlrev_b64 v[40:41], 2, v[47:48]
	v_add_co_u32_e32 v7, vcc, v8, v7
	v_addc_co_u32_e32 v8, vcc, 0, v46, vcc
	v_mov_b32_e32 v45, s83
	global_load_ushort v46, v[7:8], off
	v_add_co_u32_e32 v40, vcc, s82, v40
	v_addc_co_u32_e32 v41, vcc, v45, v41, vcc
	global_load_ushort v45, v[7:8], off offset:128
	v_or_b32_e32 v44, 0xe00, v0
	v_lshlrev_b32_e32 v47, 2, v44
	global_load_ushort v48, v[7:8], off offset:256
	global_load_ushort v58, v[7:8], off offset:384
	;; [unrolled: 1-line block ×4, first 2 shown]
	v_add_co_u32_e32 v40, vcc, v40, v47
	global_load_ushort v47, v[7:8], off offset:768
	global_load_ushort v61, v[7:8], off offset:896
	;; [unrolled: 1-line block ×4, first 2 shown]
	v_addc_co_u32_e32 v41, vcc, 0, v41, vcc
	global_store_dword v[40:41], v43, off
	s_waitcnt lgkmcnt(0)
	v_lshlrev_b64 v[40:41], 2, v[49:50]
	global_load_ushort v49, v[7:8], off offset:1280
	global_load_ushort v50, v[7:8], off offset:1408
	;; [unrolled: 1-line block ×7, first 2 shown]
	v_mov_b32_e32 v43, s83
	v_add_co_u32_e32 v68, vcc, s82, v40
	v_addc_co_u32_e32 v43, vcc, v43, v41, vcc
	ds_read2st64_b32 v[40:41], v51 offset0:72 offset1:76
	global_load_ushort v51, v[7:8], off offset:2176
	v_add_co_u32_e32 v7, vcc, v68, v70
	v_xor_b32_e32 v42, 0x7fffffff, v42
	v_addc_co_u32_e32 v8, vcc, 0, v43, vcc
	global_store_dword v[7:8], v42, off
	s_waitcnt lgkmcnt(0)
	v_lshrrev_b32_e32 v7, s92, v40
	v_and_b32_e32 v7, s9, v7
	v_lshlrev_b32_e32 v70, 3, v7
	ds_read_b64 v[7:8], v70
	v_lshrrev_b32_e32 v42, s92, v41
	v_and_b32_e32 v42, s9, v42
	v_lshlrev_b32_e32 v72, 3, v42
	ds_read_b64 v[42:43], v72
	s_waitcnt lgkmcnt(1)
	v_lshlrev_b64 v[7:8], 2, v[7:8]
	v_or_b32_e32 v68, 0x1000, v0
	v_add_co_u32_e32 v7, vcc, s82, v7
	v_addc_co_u32_e32 v8, vcc, v73, v8, vcc
	v_lshlrev_b32_e32 v73, 2, v68
	v_add_co_u32_e32 v7, vcc, v7, v73
	v_xor_b32_e32 v40, 0x7fffffff, v40
	v_addc_co_u32_e32 v8, vcc, 0, v8, vcc
	global_store_dword v[7:8], v40, off
	s_waitcnt lgkmcnt(0)
	v_lshlrev_b64 v[7:8], 2, v[42:43]
	v_or_b32_e32 v40, 0x1100, v0
	v_mov_b32_e32 v42, s83
	v_add_co_u32_e32 v7, vcc, s82, v7
	v_addc_co_u32_e32 v8, vcc, v42, v8, vcc
	v_lshlrev_b32_e32 v42, 2, v40
	v_add_co_u32_e32 v7, vcc, v7, v42
	v_xor_b32_e32 v41, 0x7fffffff, v41
	v_addc_co_u32_e32 v8, vcc, 0, v8, vcc
	global_store_dword v[7:8], v41, off
	v_lshlrev_b32_e32 v7, 1, v35
	s_waitcnt vmcnt(0)
	s_barrier
	v_lshlrev_b32_e32 v0, 1, v0
	v_lshlrev_b32_e32 v6, 1, v6
	ds_write_b16 v7, v46 offset:2048
	v_lshlrev_b32_e32 v7, 1, v34
	ds_write_b16 v7, v45 offset:2048
	;; [unrolled: 2-line block ×18, first 2 shown]
	s_waitcnt lgkmcnt(0)
	s_barrier
	ds_read_b64 v[7:8], v52
	ds_read_u16 v14, v0 offset:2048
	ds_read_b64 v[12:13], v53
	ds_read_b64 v[16:17], v54
	;; [unrolled: 1-line block ×3, first 2 shown]
	s_waitcnt lgkmcnt(4)
	v_lshlrev_b64 v[7:8], 1, v[7:8]
	v_mov_b32_e32 v20, s87
	v_add_co_u32_e32 v7, vcc, s86, v7
	v_addc_co_u32_e32 v8, vcc, v20, v8, vcc
	v_add_co_u32_e32 v7, vcc, v7, v0
	v_addc_co_u32_e32 v8, vcc, 0, v8, vcc
	ds_read_u16 v20, v0 offset:2560
	ds_read_b64 v[22:23], v70
	ds_read_b64 v[24:25], v72
	s_waitcnt lgkmcnt(6)
	global_store_short v[7:8], v14, off
	s_waitcnt lgkmcnt(5)
	v_lshlrev_b64 v[7:8], 1, v[12:13]
	v_mov_b32_e32 v12, s87
	v_add_co_u32_e32 v7, vcc, s86, v7
	v_addc_co_u32_e32 v8, vcc, v12, v8, vcc
	v_add_co_u32_e32 v7, vcc, v7, v0
	v_addc_co_u32_e32 v8, vcc, 0, v8, vcc
	s_waitcnt lgkmcnt(2)
	global_store_short v[7:8], v20, off offset:512
	v_lshlrev_b64 v[7:8], 1, v[16:17]
	v_add_co_u32_e32 v7, vcc, s86, v7
	v_addc_co_u32_e32 v8, vcc, v12, v8, vcc
	v_add_co_u32_e32 v7, vcc, v7, v0
	v_addc_co_u32_e32 v8, vcc, 0, v8, vcc
	ds_read_u16 v12, v0 offset:3072
	ds_read_u16 v14, v0 offset:3584
	;; [unrolled: 1-line block ×8, first 2 shown]
	s_waitcnt lgkmcnt(7)
	global_store_short v[7:8], v12, off offset:1024
	v_lshlrev_b64 v[7:8], 1, v[18:19]
	v_mov_b32_e32 v12, s87
	v_add_co_u32_e32 v7, vcc, s86, v7
	v_addc_co_u32_e32 v8, vcc, v12, v8, vcc
	ds_read_b64 v[12:13], v4
	v_add_co_u32_e32 v7, vcc, v7, v0
	v_addc_co_u32_e32 v8, vcc, 0, v8, vcc
	s_waitcnt lgkmcnt(7)
	global_store_short v[7:8], v14, off offset:1536
	s_waitcnt lgkmcnt(0)
	v_lshlrev_b64 v[12:13], 1, v[12:13]
	ds_read_b64 v[7:8], v2
	ds_read_b64 v[2:3], v3
	;; [unrolled: 1-line block ×3, first 2 shown]
	v_mov_b32_e32 v14, s87
	v_add_co_u32_e32 v12, vcc, s86, v12
	v_addc_co_u32_e32 v13, vcc, v14, v13, vcc
	v_add_co_u32_e32 v12, vcc, v12, v0
	s_waitcnt lgkmcnt(2)
	v_lshlrev_b64 v[7:8], 1, v[7:8]
	v_addc_co_u32_e32 v13, vcc, 0, v13, vcc
	global_store_short v[12:13], v16, off offset:2048
	v_mov_b32_e32 v12, s87
	v_add_co_u32_e32 v7, vcc, s86, v7
	v_addc_co_u32_e32 v8, vcc, v12, v8, vcc
	v_add_co_u32_e32 v7, vcc, v7, v0
	s_waitcnt lgkmcnt(1)
	v_lshlrev_b64 v[2:3], 1, v[2:3]
	v_addc_co_u32_e32 v8, vcc, 0, v8, vcc
	global_store_short v[7:8], v17, off offset:2560
	v_mov_b32_e32 v7, s87
	v_add_co_u32_e32 v2, vcc, s86, v2
	v_addc_co_u32_e32 v3, vcc, v7, v3, vcc
	v_add_co_u32_e32 v2, vcc, v2, v0
	v_addc_co_u32_e32 v3, vcc, 0, v3, vcc
	global_store_short v[2:3], v20, off offset:3072
	s_waitcnt lgkmcnt(0)
	v_lshlrev_b64 v[2:3], 1, v[4:5]
	v_mov_b32_e32 v4, s87
	v_add_co_u32_e32 v2, vcc, s86, v2
	v_addc_co_u32_e32 v3, vcc, v4, v3, vcc
	ds_read_b64 v[4:5], v11
	v_add_co_u32_e32 v2, vcc, v2, v0
	v_addc_co_u32_e32 v3, vcc, 0, v3, vcc
	global_store_short v[2:3], v27, off offset:3584
	s_waitcnt lgkmcnt(0)
	v_lshlrev_b64 v[4:5], 1, v[4:5]
	ds_read_b64 v[2:3], v15
	ds_read_b64 v[7:8], v21
	;; [unrolled: 1-line block ×3, first 2 shown]
	v_mov_b32_e32 v13, s87
	v_add_co_u32_e32 v4, vcc, s86, v4
	v_addc_co_u32_e32 v5, vcc, v13, v5, vcc
	v_add_co_u32_e32 v4, vcc, v4, v6
	s_waitcnt lgkmcnt(2)
	v_lshlrev_b64 v[2:3], 1, v[2:3]
	v_addc_co_u32_e32 v5, vcc, 0, v5, vcc
	global_store_short v[4:5], v28, off
	v_mov_b32_e32 v4, s87
	v_add_co_u32_e32 v2, vcc, s86, v2
	v_addc_co_u32_e32 v3, vcc, v4, v3, vcc
	v_lshlrev_b32_e32 v4, 1, v31
	v_add_co_u32_e32 v2, vcc, v2, v4
	v_addc_co_u32_e32 v3, vcc, 0, v3, vcc
	global_store_short v[2:3], v29, off
	s_waitcnt lgkmcnt(1)
	v_lshlrev_b64 v[2:3], 1, v[7:8]
	v_mov_b32_e32 v4, s87
	v_add_co_u32_e32 v2, vcc, s86, v2
	v_addc_co_u32_e32 v3, vcc, v4, v3, vcc
	v_lshlrev_b32_e32 v4, 1, v33
	v_add_co_u32_e32 v2, vcc, v2, v4
	v_addc_co_u32_e32 v3, vcc, 0, v3, vcc
	ds_read_u16 v4, v0 offset:7168
	ds_read_u16 v6, v0 offset:7680
	;; [unrolled: 1-line block ×8, first 2 shown]
	s_waitcnt lgkmcnt(7)
	global_store_short v[2:3], v4, off
	v_lshlrev_b64 v[2:3], 1, v[11:12]
	v_mov_b32_e32 v4, s87
	v_add_co_u32_e32 v2, vcc, s86, v2
	v_addc_co_u32_e32 v3, vcc, v4, v3, vcc
	v_lshlrev_b32_e32 v4, 1, v26
	v_add_co_u32_e32 v2, vcc, v2, v4
	ds_read_b64 v[4:5], v37
	v_addc_co_u32_e32 v3, vcc, 0, v3, vcc
	s_waitcnt lgkmcnt(7)
	global_store_short v[2:3], v6, off
	ds_read_b64 v[2:3], v38
	ds_read_b64 v[6:7], v39
	;; [unrolled: 1-line block ×3, first 2 shown]
	s_waitcnt lgkmcnt(3)
	v_lshlrev_b64 v[4:5], 1, v[4:5]
	v_mov_b32_e32 v17, s87
	v_add_co_u32_e32 v4, vcc, s86, v4
	v_addc_co_u32_e32 v5, vcc, v17, v5, vcc
	v_lshlrev_b32_e32 v17, 1, v36
	v_add_co_u32_e32 v4, vcc, v4, v17
	s_waitcnt lgkmcnt(2)
	v_lshlrev_b64 v[2:3], 1, v[2:3]
	v_addc_co_u32_e32 v5, vcc, 0, v5, vcc
	global_store_short v[4:5], v8, off
	v_mov_b32_e32 v4, s87
	v_add_co_u32_e32 v2, vcc, s86, v2
	v_addc_co_u32_e32 v3, vcc, v4, v3, vcc
	v_lshlrev_b32_e32 v4, 1, v56
	v_add_co_u32_e32 v2, vcc, v2, v4
	v_addc_co_u32_e32 v3, vcc, 0, v3, vcc
	global_store_short v[2:3], v13, off
	s_waitcnt lgkmcnt(1)
	v_lshlrev_b64 v[2:3], 1, v[6:7]
	v_mov_b32_e32 v4, s87
	v_add_co_u32_e32 v2, vcc, s86, v2
	v_addc_co_u32_e32 v3, vcc, v4, v3, vcc
	v_lshlrev_b32_e32 v4, 1, v44
	v_add_co_u32_e32 v2, vcc, v2, v4
	v_addc_co_u32_e32 v3, vcc, 0, v3, vcc
	global_store_short v[2:3], v14, off
	s_waitcnt lgkmcnt(0)
	v_lshlrev_b64 v[2:3], 1, v[11:12]
	v_mov_b32_e32 v4, s87
	v_add_co_u32_e32 v2, vcc, s86, v2
	v_addc_co_u32_e32 v3, vcc, v4, v3, vcc
	v_lshlrev_b32_e32 v4, 1, v62
	v_add_co_u32_e32 v2, vcc, v2, v4
	v_addc_co_u32_e32 v3, vcc, 0, v3, vcc
	global_store_short v[2:3], v15, off
	v_lshlrev_b64 v[2:3], 1, v[22:23]
	v_mov_b32_e32 v4, s87
	v_add_co_u32_e32 v2, vcc, s86, v2
	v_addc_co_u32_e32 v3, vcc, v4, v3, vcc
	v_lshlrev_b32_e32 v4, 1, v68
	v_add_co_u32_e32 v2, vcc, v2, v4
	v_addc_co_u32_e32 v3, vcc, 0, v3, vcc
	global_store_short v[2:3], v16, off
	;; [unrolled: 8-line block ×3, first 2 shown]
	s_cbranch_scc1 .LBB14_273
; %bb.272:
	ds_read_b64 v[2:3], v1
	v_add_co_u32_e32 v0, vcc, v10, v9
	v_addc_co_u32_e64 v4, s[0:1], 0, 0, vcc
	s_waitcnt lgkmcnt(0)
	v_add_co_u32_e32 v2, vcc, v0, v2
	v_addc_co_u32_e32 v3, vcc, v4, v3, vcc
	global_store_dwordx2 v1, v[2:3], s[2:3]
.LBB14_273:
	s_endpgm
.LBB14_274:
	s_or_b64 exec, exec, s[0:1]
	s_and_saveexec_b64 s[0:1], s[40:41]
	s_cbranch_execz .LBB14_199
.LBB14_275:
	v_lshlrev_b32_e32 v10, 3, v65
	ds_read_b64 v[10:11], v10
	v_lshlrev_b32_e32 v22, 1, v0
	ds_read_u16 v24, v22 offset:2560
	v_mov_b32_e32 v26, s87
	s_waitcnt lgkmcnt(1)
	v_lshlrev_b64 v[10:11], 1, v[10:11]
	v_add_co_u32_e32 v10, vcc, s86, v10
	v_addc_co_u32_e32 v11, vcc, v26, v11, vcc
	v_add_co_u32_e32 v10, vcc, v10, v22
	v_addc_co_u32_e32 v11, vcc, 0, v11, vcc
	s_waitcnt lgkmcnt(0)
	global_store_short v[10:11], v24, off offset:512
	s_or_b64 exec, exec, s[0:1]
	s_and_saveexec_b64 s[0:1], s[42:43]
	s_cbranch_execnz .LBB14_200
.LBB14_276:
	s_or_b64 exec, exec, s[0:1]
	s_and_saveexec_b64 s[0:1], s[44:45]
	s_cbranch_execz .LBB14_201
.LBB14_277:
	v_lshlrev_b32_e32 v10, 3, v61
	ds_read_b64 v[10:11], v10
	v_lshlrev_b32_e32 v22, 1, v0
	ds_read_u16 v24, v22 offset:3584
	v_mov_b32_e32 v26, s87
	s_waitcnt lgkmcnt(1)
	v_lshlrev_b64 v[10:11], 1, v[10:11]
	v_add_co_u32_e32 v10, vcc, s86, v10
	v_addc_co_u32_e32 v11, vcc, v26, v11, vcc
	v_add_co_u32_e32 v10, vcc, v10, v22
	v_addc_co_u32_e32 v11, vcc, 0, v11, vcc
	s_waitcnt lgkmcnt(0)
	global_store_short v[10:11], v24, off offset:1536
	s_or_b64 exec, exec, s[0:1]
	s_and_saveexec_b64 s[0:1], s[46:47]
	s_cbranch_execnz .LBB14_202
.LBB14_278:
	s_or_b64 exec, exec, s[0:1]
	s_and_saveexec_b64 s[0:1], s[48:49]
	s_cbranch_execz .LBB14_203
.LBB14_279:
	v_lshlrev_b32_e32 v10, 3, v58
	ds_read_b64 v[10:11], v10
	v_lshlrev_b32_e32 v22, 1, v0
	ds_read_u16 v24, v22 offset:4608
	v_mov_b32_e32 v26, s87
	s_waitcnt lgkmcnt(1)
	v_lshlrev_b64 v[10:11], 1, v[10:11]
	v_add_co_u32_e32 v10, vcc, s86, v10
	v_addc_co_u32_e32 v11, vcc, v26, v11, vcc
	v_add_co_u32_e32 v10, vcc, v10, v22
	v_addc_co_u32_e32 v11, vcc, 0, v11, vcc
	s_waitcnt lgkmcnt(0)
	global_store_short v[10:11], v24, off offset:2560
	s_or_b64 exec, exec, s[0:1]
	s_and_saveexec_b64 s[0:1], s[50:51]
	s_cbranch_execnz .LBB14_204
.LBB14_280:
	s_or_b64 exec, exec, s[0:1]
	s_and_saveexec_b64 s[0:1], s[52:53]
	s_cbranch_execz .LBB14_205
.LBB14_281:
	v_lshlrev_b32_e32 v10, 3, v53
	ds_read_b64 v[10:11], v10
	v_lshlrev_b32_e32 v22, 1, v0
	ds_read_u16 v24, v22 offset:5632
	v_mov_b32_e32 v26, s87
	s_waitcnt lgkmcnt(1)
	v_lshlrev_b64 v[10:11], 1, v[10:11]
	v_add_co_u32_e32 v10, vcc, s86, v10
	v_addc_co_u32_e32 v11, vcc, v26, v11, vcc
	v_add_co_u32_e32 v10, vcc, v10, v22
	v_addc_co_u32_e32 v11, vcc, 0, v11, vcc
	s_waitcnt lgkmcnt(0)
	global_store_short v[10:11], v24, off offset:3584
	s_or_b64 exec, exec, s[0:1]
	s_and_saveexec_b64 s[0:1], s[54:55]
	s_cbranch_execnz .LBB14_206
.LBB14_282:
	s_or_b64 exec, exec, s[0:1]
	s_and_saveexec_b64 s[0:1], s[56:57]
	s_cbranch_execz .LBB14_207
.LBB14_283:
	v_lshlrev_b32_e32 v5, 3, v47
	ds_read_b64 v[10:11], v5
	v_lshlrev_b32_e32 v5, 1, v0
	ds_read_u16 v22, v5 offset:6656
	v_mov_b32_e32 v5, s87
	s_waitcnt lgkmcnt(1)
	v_lshlrev_b64 v[10:11], 1, v[10:11]
	v_add_co_u32_e32 v10, vcc, s86, v10
	v_addc_co_u32_e32 v11, vcc, v5, v11, vcc
	v_lshlrev_b32_e32 v5, 1, v6
	v_add_co_u32_e32 v5, vcc, v10, v5
	v_addc_co_u32_e32 v6, vcc, 0, v11, vcc
	s_waitcnt lgkmcnt(0)
	global_store_short v[5:6], v22, off
	s_or_b64 exec, exec, s[0:1]
	s_and_saveexec_b64 s[0:1], s[58:59]
	s_cbranch_execnz .LBB14_208
.LBB14_284:
	s_or_b64 exec, exec, s[0:1]
	s_and_saveexec_b64 s[0:1], s[60:61]
	s_cbranch_execz .LBB14_209
.LBB14_285:
	v_lshlrev_b32_e32 v5, 3, v28
	ds_read_b64 v[5:6], v5
	v_lshlrev_b32_e32 v8, 1, v0
	ds_read_u16 v8, v8 offset:7680
	v_mov_b32_e32 v10, s87
	s_waitcnt lgkmcnt(1)
	v_lshlrev_b64 v[5:6], 1, v[5:6]
	v_add_co_u32_e32 v5, vcc, s86, v5
	v_addc_co_u32_e32 v6, vcc, v10, v6, vcc
	v_lshlrev_b32_e32 v10, 1, v13
	v_add_co_u32_e32 v5, vcc, v5, v10
	v_addc_co_u32_e32 v6, vcc, 0, v6, vcc
	s_waitcnt lgkmcnt(0)
	global_store_short v[5:6], v8, off
	s_or_b64 exec, exec, s[0:1]
	s_and_saveexec_b64 s[0:1], s[62:63]
	s_cbranch_execnz .LBB14_210
.LBB14_286:
	s_or_b64 exec, exec, s[0:1]
	s_and_saveexec_b64 s[0:1], s[64:65]
	s_cbranch_execz .LBB14_211
.LBB14_287:
	v_lshlrev_b32_e32 v5, 3, v23
	ds_read_b64 v[5:6], v5
	v_lshlrev_b32_e32 v8, 1, v0
	ds_read_u16 v8, v8 offset:8704
	v_mov_b32_e32 v10, s87
	s_waitcnt lgkmcnt(1)
	v_lshlrev_b64 v[5:6], 1, v[5:6]
	v_add_co_u32_e32 v5, vcc, s86, v5
	v_addc_co_u32_e32 v6, vcc, v10, v6, vcc
	v_lshlrev_b32_e32 v10, 1, v15
	v_add_co_u32_e32 v5, vcc, v5, v10
	v_addc_co_u32_e32 v6, vcc, 0, v6, vcc
	s_waitcnt lgkmcnt(0)
	global_store_short v[5:6], v8, off
	s_or_b64 exec, exec, s[0:1]
	s_and_saveexec_b64 s[0:1], s[66:67]
	s_cbranch_execnz .LBB14_212
.LBB14_288:
	s_or_b64 exec, exec, s[0:1]
	s_and_saveexec_b64 s[0:1], s[68:69]
	s_cbranch_execz .LBB14_213
.LBB14_289:
	v_lshlrev_b32_e32 v4, 3, v4
	ds_read_b64 v[4:5], v4
	v_lshlrev_b32_e32 v6, 1, v0
	ds_read_u16 v6, v6 offset:9728
	v_mov_b32_e32 v8, s87
	s_waitcnt lgkmcnt(1)
	v_lshlrev_b64 v[4:5], 1, v[4:5]
	v_add_co_u32_e32 v4, vcc, s86, v4
	v_addc_co_u32_e32 v5, vcc, v8, v5, vcc
	v_lshlrev_b32_e32 v8, 1, v17
	v_add_co_u32_e32 v4, vcc, v4, v8
	v_addc_co_u32_e32 v5, vcc, 0, v5, vcc
	s_waitcnt lgkmcnt(0)
	global_store_short v[4:5], v6, off
	s_or_b64 exec, exec, s[0:1]
	s_and_saveexec_b64 s[0:1], s[70:71]
	s_cbranch_execnz .LBB14_214
.LBB14_290:
	s_or_b64 exec, exec, s[0:1]
	s_and_saveexec_b64 s[0:1], s[72:73]
	s_cbranch_execz .LBB14_215
.LBB14_291:
	v_lshlrev_b32_e32 v3, 3, v3
	ds_read_b64 v[3:4], v3
	v_lshlrev_b32_e32 v5, 1, v0
	ds_read_u16 v5, v5 offset:10752
	v_mov_b32_e32 v6, s87
	s_waitcnt lgkmcnt(1)
	v_lshlrev_b64 v[3:4], 1, v[3:4]
	v_add_co_u32_e32 v3, vcc, s86, v3
	v_addc_co_u32_e32 v4, vcc, v6, v4, vcc
	v_lshlrev_b32_e32 v6, 1, v19
	v_add_co_u32_e32 v3, vcc, v3, v6
	v_addc_co_u32_e32 v4, vcc, 0, v4, vcc
	s_waitcnt lgkmcnt(0)
	global_store_short v[3:4], v5, off
	s_or_b64 exec, exec, s[0:1]
	s_add_i32 s33, s33, -1
	s_cmp_eq_u32 s6, s33
	s_cbranch_scc1 .LBB14_216
	s_branch .LBB14_217
	.section	.rodata,"a",@progbits
	.p2align	6, 0x0
	.amdhsa_kernel _ZN7rocprim17ROCPRIM_304000_NS6detail25onesweep_iteration_kernelINS1_34wrapped_radix_sort_onesweep_configINS0_14default_configEiN2at4cuda3cub6detail10OpaqueTypeILi2EEEEELb1EPKiPiPKSA_PSA_mNS0_19identity_decomposerEEEvT1_T2_T3_T4_jPT5_SO_PNS1_23onesweep_lookback_stateET6_jjj
		.amdhsa_group_segment_fixed_size 20480
		.amdhsa_private_segment_fixed_size 0
		.amdhsa_kernarg_size 336
		.amdhsa_user_sgpr_count 6
		.amdhsa_user_sgpr_private_segment_buffer 1
		.amdhsa_user_sgpr_dispatch_ptr 0
		.amdhsa_user_sgpr_queue_ptr 0
		.amdhsa_user_sgpr_kernarg_segment_ptr 1
		.amdhsa_user_sgpr_dispatch_id 0
		.amdhsa_user_sgpr_flat_scratch_init 0
		.amdhsa_user_sgpr_private_segment_size 0
		.amdhsa_uses_dynamic_stack 0
		.amdhsa_system_sgpr_private_segment_wavefront_offset 0
		.amdhsa_system_sgpr_workgroup_id_x 1
		.amdhsa_system_sgpr_workgroup_id_y 0
		.amdhsa_system_sgpr_workgroup_id_z 0
		.amdhsa_system_sgpr_workgroup_info 0
		.amdhsa_system_vgpr_workitem_id 2
		.amdhsa_next_free_vgpr 89
		.amdhsa_next_free_sgpr 98
		.amdhsa_reserve_vcc 1
		.amdhsa_reserve_flat_scratch 0
		.amdhsa_float_round_mode_32 0
		.amdhsa_float_round_mode_16_64 0
		.amdhsa_float_denorm_mode_32 3
		.amdhsa_float_denorm_mode_16_64 3
		.amdhsa_dx10_clamp 1
		.amdhsa_ieee_mode 1
		.amdhsa_fp16_overflow 0
		.amdhsa_exception_fp_ieee_invalid_op 0
		.amdhsa_exception_fp_denorm_src 0
		.amdhsa_exception_fp_ieee_div_zero 0
		.amdhsa_exception_fp_ieee_overflow 0
		.amdhsa_exception_fp_ieee_underflow 0
		.amdhsa_exception_fp_ieee_inexact 0
		.amdhsa_exception_int_div_zero 0
	.end_amdhsa_kernel
	.section	.text._ZN7rocprim17ROCPRIM_304000_NS6detail25onesweep_iteration_kernelINS1_34wrapped_radix_sort_onesweep_configINS0_14default_configEiN2at4cuda3cub6detail10OpaqueTypeILi2EEEEELb1EPKiPiPKSA_PSA_mNS0_19identity_decomposerEEEvT1_T2_T3_T4_jPT5_SO_PNS1_23onesweep_lookback_stateET6_jjj,"axG",@progbits,_ZN7rocprim17ROCPRIM_304000_NS6detail25onesweep_iteration_kernelINS1_34wrapped_radix_sort_onesweep_configINS0_14default_configEiN2at4cuda3cub6detail10OpaqueTypeILi2EEEEELb1EPKiPiPKSA_PSA_mNS0_19identity_decomposerEEEvT1_T2_T3_T4_jPT5_SO_PNS1_23onesweep_lookback_stateET6_jjj,comdat
.Lfunc_end14:
	.size	_ZN7rocprim17ROCPRIM_304000_NS6detail25onesweep_iteration_kernelINS1_34wrapped_radix_sort_onesweep_configINS0_14default_configEiN2at4cuda3cub6detail10OpaqueTypeILi2EEEEELb1EPKiPiPKSA_PSA_mNS0_19identity_decomposerEEEvT1_T2_T3_T4_jPT5_SO_PNS1_23onesweep_lookback_stateET6_jjj, .Lfunc_end14-_ZN7rocprim17ROCPRIM_304000_NS6detail25onesweep_iteration_kernelINS1_34wrapped_radix_sort_onesweep_configINS0_14default_configEiN2at4cuda3cub6detail10OpaqueTypeILi2EEEEELb1EPKiPiPKSA_PSA_mNS0_19identity_decomposerEEEvT1_T2_T3_T4_jPT5_SO_PNS1_23onesweep_lookback_stateET6_jjj
                                        ; -- End function
	.set _ZN7rocprim17ROCPRIM_304000_NS6detail25onesweep_iteration_kernelINS1_34wrapped_radix_sort_onesweep_configINS0_14default_configEiN2at4cuda3cub6detail10OpaqueTypeILi2EEEEELb1EPKiPiPKSA_PSA_mNS0_19identity_decomposerEEEvT1_T2_T3_T4_jPT5_SO_PNS1_23onesweep_lookback_stateET6_jjj.num_vgpr, 89
	.set _ZN7rocprim17ROCPRIM_304000_NS6detail25onesweep_iteration_kernelINS1_34wrapped_radix_sort_onesweep_configINS0_14default_configEiN2at4cuda3cub6detail10OpaqueTypeILi2EEEEELb1EPKiPiPKSA_PSA_mNS0_19identity_decomposerEEEvT1_T2_T3_T4_jPT5_SO_PNS1_23onesweep_lookback_stateET6_jjj.num_agpr, 0
	.set _ZN7rocprim17ROCPRIM_304000_NS6detail25onesweep_iteration_kernelINS1_34wrapped_radix_sort_onesweep_configINS0_14default_configEiN2at4cuda3cub6detail10OpaqueTypeILi2EEEEELb1EPKiPiPKSA_PSA_mNS0_19identity_decomposerEEEvT1_T2_T3_T4_jPT5_SO_PNS1_23onesweep_lookback_stateET6_jjj.numbered_sgpr, 96
	.set _ZN7rocprim17ROCPRIM_304000_NS6detail25onesweep_iteration_kernelINS1_34wrapped_radix_sort_onesweep_configINS0_14default_configEiN2at4cuda3cub6detail10OpaqueTypeILi2EEEEELb1EPKiPiPKSA_PSA_mNS0_19identity_decomposerEEEvT1_T2_T3_T4_jPT5_SO_PNS1_23onesweep_lookback_stateET6_jjj.num_named_barrier, 0
	.set _ZN7rocprim17ROCPRIM_304000_NS6detail25onesweep_iteration_kernelINS1_34wrapped_radix_sort_onesweep_configINS0_14default_configEiN2at4cuda3cub6detail10OpaqueTypeILi2EEEEELb1EPKiPiPKSA_PSA_mNS0_19identity_decomposerEEEvT1_T2_T3_T4_jPT5_SO_PNS1_23onesweep_lookback_stateET6_jjj.private_seg_size, 0
	.set _ZN7rocprim17ROCPRIM_304000_NS6detail25onesweep_iteration_kernelINS1_34wrapped_radix_sort_onesweep_configINS0_14default_configEiN2at4cuda3cub6detail10OpaqueTypeILi2EEEEELb1EPKiPiPKSA_PSA_mNS0_19identity_decomposerEEEvT1_T2_T3_T4_jPT5_SO_PNS1_23onesweep_lookback_stateET6_jjj.uses_vcc, 1
	.set _ZN7rocprim17ROCPRIM_304000_NS6detail25onesweep_iteration_kernelINS1_34wrapped_radix_sort_onesweep_configINS0_14default_configEiN2at4cuda3cub6detail10OpaqueTypeILi2EEEEELb1EPKiPiPKSA_PSA_mNS0_19identity_decomposerEEEvT1_T2_T3_T4_jPT5_SO_PNS1_23onesweep_lookback_stateET6_jjj.uses_flat_scratch, 0
	.set _ZN7rocprim17ROCPRIM_304000_NS6detail25onesweep_iteration_kernelINS1_34wrapped_radix_sort_onesweep_configINS0_14default_configEiN2at4cuda3cub6detail10OpaqueTypeILi2EEEEELb1EPKiPiPKSA_PSA_mNS0_19identity_decomposerEEEvT1_T2_T3_T4_jPT5_SO_PNS1_23onesweep_lookback_stateET6_jjj.has_dyn_sized_stack, 0
	.set _ZN7rocprim17ROCPRIM_304000_NS6detail25onesweep_iteration_kernelINS1_34wrapped_radix_sort_onesweep_configINS0_14default_configEiN2at4cuda3cub6detail10OpaqueTypeILi2EEEEELb1EPKiPiPKSA_PSA_mNS0_19identity_decomposerEEEvT1_T2_T3_T4_jPT5_SO_PNS1_23onesweep_lookback_stateET6_jjj.has_recursion, 0
	.set _ZN7rocprim17ROCPRIM_304000_NS6detail25onesweep_iteration_kernelINS1_34wrapped_radix_sort_onesweep_configINS0_14default_configEiN2at4cuda3cub6detail10OpaqueTypeILi2EEEEELb1EPKiPiPKSA_PSA_mNS0_19identity_decomposerEEEvT1_T2_T3_T4_jPT5_SO_PNS1_23onesweep_lookback_stateET6_jjj.has_indirect_call, 0
	.section	.AMDGPU.csdata,"",@progbits
; Kernel info:
; codeLenInByte = 26556
; TotalNumSgprs: 100
; NumVgprs: 89
; ScratchSize: 0
; MemoryBound: 0
; FloatMode: 240
; IeeeMode: 1
; LDSByteSize: 20480 bytes/workgroup (compile time only)
; SGPRBlocks: 12
; VGPRBlocks: 22
; NumSGPRsForWavesPerEU: 102
; NumVGPRsForWavesPerEU: 89
; Occupancy: 2
; WaveLimiterHint : 1
; COMPUTE_PGM_RSRC2:SCRATCH_EN: 0
; COMPUTE_PGM_RSRC2:USER_SGPR: 6
; COMPUTE_PGM_RSRC2:TRAP_HANDLER: 0
; COMPUTE_PGM_RSRC2:TGID_X_EN: 1
; COMPUTE_PGM_RSRC2:TGID_Y_EN: 0
; COMPUTE_PGM_RSRC2:TGID_Z_EN: 0
; COMPUTE_PGM_RSRC2:TIDIG_COMP_CNT: 2
	.section	.text._ZN7rocprim17ROCPRIM_304000_NS6detail25onesweep_iteration_kernelINS1_34wrapped_radix_sort_onesweep_configINS0_14default_configEiN2at4cuda3cub6detail10OpaqueTypeILi2EEEEELb1EPiSC_PSA_SD_mNS0_19identity_decomposerEEEvT1_T2_T3_T4_jPT5_SK_PNS1_23onesweep_lookback_stateET6_jjj,"axG",@progbits,_ZN7rocprim17ROCPRIM_304000_NS6detail25onesweep_iteration_kernelINS1_34wrapped_radix_sort_onesweep_configINS0_14default_configEiN2at4cuda3cub6detail10OpaqueTypeILi2EEEEELb1EPiSC_PSA_SD_mNS0_19identity_decomposerEEEvT1_T2_T3_T4_jPT5_SK_PNS1_23onesweep_lookback_stateET6_jjj,comdat
	.protected	_ZN7rocprim17ROCPRIM_304000_NS6detail25onesweep_iteration_kernelINS1_34wrapped_radix_sort_onesweep_configINS0_14default_configEiN2at4cuda3cub6detail10OpaqueTypeILi2EEEEELb1EPiSC_PSA_SD_mNS0_19identity_decomposerEEEvT1_T2_T3_T4_jPT5_SK_PNS1_23onesweep_lookback_stateET6_jjj ; -- Begin function _ZN7rocprim17ROCPRIM_304000_NS6detail25onesweep_iteration_kernelINS1_34wrapped_radix_sort_onesweep_configINS0_14default_configEiN2at4cuda3cub6detail10OpaqueTypeILi2EEEEELb1EPiSC_PSA_SD_mNS0_19identity_decomposerEEEvT1_T2_T3_T4_jPT5_SK_PNS1_23onesweep_lookback_stateET6_jjj
	.globl	_ZN7rocprim17ROCPRIM_304000_NS6detail25onesweep_iteration_kernelINS1_34wrapped_radix_sort_onesweep_configINS0_14default_configEiN2at4cuda3cub6detail10OpaqueTypeILi2EEEEELb1EPiSC_PSA_SD_mNS0_19identity_decomposerEEEvT1_T2_T3_T4_jPT5_SK_PNS1_23onesweep_lookback_stateET6_jjj
	.p2align	8
	.type	_ZN7rocprim17ROCPRIM_304000_NS6detail25onesweep_iteration_kernelINS1_34wrapped_radix_sort_onesweep_configINS0_14default_configEiN2at4cuda3cub6detail10OpaqueTypeILi2EEEEELb1EPiSC_PSA_SD_mNS0_19identity_decomposerEEEvT1_T2_T3_T4_jPT5_SK_PNS1_23onesweep_lookback_stateET6_jjj,@function
_ZN7rocprim17ROCPRIM_304000_NS6detail25onesweep_iteration_kernelINS1_34wrapped_radix_sort_onesweep_configINS0_14default_configEiN2at4cuda3cub6detail10OpaqueTypeILi2EEEEELb1EPiSC_PSA_SD_mNS0_19identity_decomposerEEEvT1_T2_T3_T4_jPT5_SK_PNS1_23onesweep_lookback_stateET6_jjj: ; @_ZN7rocprim17ROCPRIM_304000_NS6detail25onesweep_iteration_kernelINS1_34wrapped_radix_sort_onesweep_configINS0_14default_configEiN2at4cuda3cub6detail10OpaqueTypeILi2EEEEELb1EPiSC_PSA_SD_mNS0_19identity_decomposerEEEvT1_T2_T3_T4_jPT5_SK_PNS1_23onesweep_lookback_stateET6_jjj
; %bb.0:
	s_load_dwordx8 s[80:87], s[4:5], 0x0
	s_load_dwordx4 s[92:95], s[4:5], 0x44
	s_load_dwordx4 s[0:3], s[4:5], 0x28
                                        ; implicit-def: $vgpr88 : SGPR spill to VGPR lane
	s_load_dwordx2 s[88:89], s[4:5], 0x38
	s_mov_b32 s7, s6
	s_mul_i32 s78, s6, 0x1200
	s_waitcnt lgkmcnt(0)
	s_cmp_ge_u32 s6, s94
	v_writelane_b32 v88, s0, 0
	v_writelane_b32 v88, s1, 1
	;; [unrolled: 1-line block ×4, first 2 shown]
	s_mov_b64 s[0:1], -1
	v_mbcnt_lo_u32_b32 v9, -1, 0
	s_cbranch_scc0 .LBB15_218
; %bb.1:
	s_load_dword s2, s[4:5], 0x20
	s_mul_i32 s90, s94, 0xffffee00
	s_mov_b32 s79, 0
	s_lshl_b64 s[0:1], s[78:79], 2
	v_mbcnt_hi_u32_b32 v11, -1, v9
	s_waitcnt lgkmcnt(0)
	s_add_i32 s90, s90, s2
	s_add_u32 s0, s80, s0
	s_addc_u32 s1, s81, s1
	v_and_b32_e32 v20, 0xc0, v0
	v_lshlrev_b32_e32 v3, 2, v11
	v_mul_u32_u24_e32 v10, 18, v20
	v_mov_b32_e32 v4, s1
	v_add_co_u32_e32 v3, vcc, s0, v3
	v_addc_co_u32_e32 v4, vcc, 0, v4, vcc
	v_lshlrev_b32_e32 v5, 2, v10
	v_add_co_u32_e32 v3, vcc, v3, v5
	v_or_b32_e32 v5, v11, v10
	v_mov_b32_e32 v7, -1
	v_addc_co_u32_e32 v4, vcc, 0, v4, vcc
	v_cmp_gt_u32_e64 s[0:1], s90, v5
	v_mov_b32_e32 v8, -1
	s_and_saveexec_b64 s[2:3], s[0:1]
	s_cbranch_execz .LBB15_3
; %bb.2:
	global_load_dword v6, v[3:4], off
	s_waitcnt vmcnt(0)
	v_xor_b32_e32 v8, 0x7fffffff, v6
.LBB15_3:
	s_or_b64 exec, exec, s[2:3]
	v_add_u32_e32 v6, 64, v5
	v_cmp_gt_u32_e64 s[2:3], s90, v6
	s_and_saveexec_b64 s[8:9], s[2:3]
	s_cbranch_execz .LBB15_5
; %bb.4:
	global_load_dword v6, v[3:4], off offset:256
	s_waitcnt vmcnt(0)
	v_xor_b32_e32 v7, 0x7fffffff, v6
.LBB15_5:
	s_or_b64 exec, exec, s[8:9]
	v_add_u32_e32 v6, 0x80, v5
	v_cmp_gt_u32_e64 s[74:75], s90, v6
	v_mov_b32_e32 v12, -1
	v_mov_b32_e32 v13, -1
	s_and_saveexec_b64 s[8:9], s[74:75]
	s_cbranch_execz .LBB15_7
; %bb.6:
	global_load_dword v6, v[3:4], off offset:512
	s_waitcnt vmcnt(0)
	v_xor_b32_e32 v13, 0x7fffffff, v6
.LBB15_7:
	s_or_b64 exec, exec, s[8:9]
	v_add_u32_e32 v6, 0xc0, v5
	v_cmp_gt_u32_e64 s[8:9], s90, v6
	s_and_saveexec_b64 s[10:11], s[8:9]
	s_cbranch_execz .LBB15_9
; %bb.8:
	global_load_dword v6, v[3:4], off offset:768
	s_waitcnt vmcnt(0)
	v_xor_b32_e32 v12, 0x7fffffff, v6
.LBB15_9:
	s_or_b64 exec, exec, s[10:11]
	v_add_u32_e32 v6, 0x100, v5
	v_cmp_gt_u32_e64 s[10:11], s90, v6
	v_mov_b32_e32 v14, -1
	v_mov_b32_e32 v15, -1
	s_and_saveexec_b64 s[12:13], s[10:11]
	s_cbranch_execz .LBB15_11
; %bb.10:
	global_load_dword v6, v[3:4], off offset:1024
	s_waitcnt vmcnt(0)
	v_xor_b32_e32 v15, 0x7fffffff, v6
.LBB15_11:
	;; [unrolled: 22-line block ×7, first 2 shown]
	s_or_b64 exec, exec, s[34:35]
	v_add_u32_e32 v6, 0x3c0, v5
	v_cmp_gt_u32_e64 s[34:35], s90, v6
	s_and_saveexec_b64 s[36:37], s[34:35]
	s_cbranch_execz .LBB15_33
; %bb.32:
	global_load_dword v6, v[3:4], off offset:3840
	s_waitcnt vmcnt(0)
	v_xor_b32_e32 v25, 0x7fffffff, v6
.LBB15_33:
	s_or_b64 exec, exec, s[36:37]
	v_add_u32_e32 v6, 0x400, v5
	v_cmp_gt_u32_e64 s[36:37], s90, v6
	v_mov_b32_e32 v27, -1
	v_mov_b32_e32 v28, -1
	s_and_saveexec_b64 s[38:39], s[36:37]
	s_cbranch_execz .LBB15_35
; %bb.34:
	v_add_co_u32_e32 v28, vcc, 0x1000, v3
	v_addc_co_u32_e32 v29, vcc, 0, v4, vcc
	global_load_dword v6, v[28:29], off
	s_waitcnt vmcnt(0)
	v_xor_b32_e32 v28, 0x7fffffff, v6
.LBB15_35:
	s_or_b64 exec, exec, s[38:39]
	v_add_u32_e32 v5, 0x440, v5
	v_cmp_gt_u32_e64 s[38:39], s90, v5
	s_and_saveexec_b64 s[40:41], s[38:39]
	s_cbranch_execz .LBB15_37
; %bb.36:
	v_add_co_u32_e32 v3, vcc, 0x1000, v3
	v_addc_co_u32_e32 v4, vcc, 0, v4, vcc
	global_load_dword v3, v[3:4], off offset:256
	s_waitcnt vmcnt(0)
	v_xor_b32_e32 v27, 0x7fffffff, v3
.LBB15_37:
	s_or_b64 exec, exec, s[40:41]
	s_load_dword s40, s[4:5], 0x5c
	s_load_dword s33, s[4:5], 0x50
	s_add_u32 s41, s4, 0x50
	s_addc_u32 s42, s5, 0
	v_mov_b32_e32 v3, 0
	s_waitcnt lgkmcnt(0)
	s_lshr_b32 s43, s40, 16
	s_cmp_lt_u32 s6, s33
	s_cselect_b32 s40, 12, 18
	s_add_u32 s40, s41, s40
	s_addc_u32 s41, s42, 0
	global_load_ushort v5, v3, s[40:41]
	s_lshl_b32 s40, -1, s93
	v_lshrrev_b32_e32 v4, s92, v8
	s_not_b32 s94, s40
	v_and_b32_e32 v30, s94, v4
	v_and_b32_e32 v31, 1, v30
	v_add_co_u32_e32 v33, vcc, -1, v31
	v_lshlrev_b32_e32 v4, 30, v30
	v_addc_co_u32_e64 v34, s[40:41], 0, -1, vcc
	v_cmp_ne_u32_e32 vcc, 0, v31
	v_cmp_gt_i64_e64 s[40:41], 0, v[3:4]
	v_not_b32_e32 v31, v4
	v_lshlrev_b32_e32 v4, 29, v30
	v_xor_b32_e32 v34, vcc_hi, v34
	v_xor_b32_e32 v33, vcc_lo, v33
	v_ashrrev_i32_e32 v31, 31, v31
	v_cmp_gt_i64_e32 vcc, 0, v[3:4]
	v_not_b32_e32 v35, v4
	v_lshlrev_b32_e32 v4, 28, v30
	v_and_b32_e32 v34, exec_hi, v34
	v_and_b32_e32 v33, exec_lo, v33
	v_xor_b32_e32 v36, s41, v31
	v_xor_b32_e32 v31, s40, v31
	v_ashrrev_i32_e32 v35, 31, v35
	v_cmp_gt_i64_e64 s[40:41], 0, v[3:4]
	v_not_b32_e32 v37, v4
	v_lshlrev_b32_e32 v4, 27, v30
	v_and_b32_e32 v34, v34, v36
	v_and_b32_e32 v31, v33, v31
	v_xor_b32_e32 v33, vcc_hi, v35
	v_xor_b32_e32 v35, vcc_lo, v35
	v_ashrrev_i32_e32 v36, 31, v37
	v_cmp_gt_i64_e32 vcc, 0, v[3:4]
	v_not_b32_e32 v37, v4
	v_lshlrev_b32_e32 v4, 26, v30
	v_and_b32_e32 v33, v34, v33
	v_and_b32_e32 v31, v31, v35
	v_xor_b32_e32 v34, s41, v36
	v_xor_b32_e32 v35, s40, v36
	v_ashrrev_i32_e32 v36, 31, v37
	v_cmp_gt_i64_e64 s[40:41], 0, v[3:4]
	v_not_b32_e32 v37, v4
	v_lshlrev_b32_e32 v4, 25, v30
	v_and_b32_e32 v33, v33, v34
	v_and_b32_e32 v31, v31, v35
	v_xor_b32_e32 v34, vcc_hi, v36
	v_xor_b32_e32 v35, vcc_lo, v36
	v_ashrrev_i32_e32 v36, 31, v37
	v_cmp_gt_i64_e32 vcc, 0, v[3:4]
	v_not_b32_e32 v37, v4
	v_mul_lo_u32 v32, v30, 20
	v_lshlrev_b32_e32 v4, 24, v30
	v_and_b32_e32 v30, v33, v34
	v_and_b32_e32 v31, v31, v35
	v_xor_b32_e32 v33, s41, v36
	v_xor_b32_e32 v34, s40, v36
	v_ashrrev_i32_e32 v35, 31, v37
	v_mad_u32_u24 v6, v2, s43, v1
	v_and_b32_e32 v30, v30, v33
	v_and_b32_e32 v31, v31, v34
	v_xor_b32_e32 v33, vcc_hi, v35
	v_xor_b32_e32 v34, vcc_lo, v35
	v_cmp_gt_i64_e64 s[40:41], 0, v[3:4]
	v_not_b32_e32 v4, v4
	v_and_b32_e32 v33, v30, v33
	v_and_b32_e32 v34, v31, v34
	v_ashrrev_i32_e32 v4, 31, v4
	v_xor_b32_e32 v35, s41, v4
	v_xor_b32_e32 v4, s40, v4
	v_and_b32_e32 v4, v34, v4
	v_mul_u32_u24_e32 v29, 20, v0
	ds_write2_b32 v29, v3, v3 offset0:4 offset1:5
	ds_write2_b32 v29, v3, v3 offset0:6 offset1:7
	ds_write_b32 v29, v3 offset:32
	s_waitcnt vmcnt(0) lgkmcnt(0)
	s_barrier
	; wave barrier
	v_mad_u64_u32 v[30:31], s[42:43], v6, v5, v[0:1]
	v_and_b32_e32 v5, v33, v35
	v_cmp_ne_u64_e32 vcc, 0, v[4:5]
	v_lshrrev_b32_e32 v6, 6, v30
	v_mbcnt_lo_u32_b32 v30, v4, 0
	v_mbcnt_hi_u32_b32 v30, v5, v30
	v_cmp_eq_u32_e64 s[40:41], 0, v30
	v_lshl_add_u32 v31, v6, 2, v32
	s_and_b64 s[42:43], vcc, s[40:41]
	s_and_saveexec_b64 s[40:41], s[42:43]
; %bb.38:
	v_bcnt_u32_b32 v4, v4, 0
	v_bcnt_u32_b32 v4, v5, v4
	ds_write_b32 v31, v4 offset:16
; %bb.39:
	s_or_b64 exec, exec, s[40:41]
	v_lshrrev_b32_e32 v4, s92, v7
	v_and_b32_e32 v5, s94, v4
	v_mul_lo_u32 v4, v5, 20
	v_and_b32_e32 v34, 1, v5
	; wave barrier
	v_lshl_add_u32 v33, v6, 2, v4
	v_add_co_u32_e32 v4, vcc, -1, v34
	v_addc_co_u32_e64 v35, s[40:41], 0, -1, vcc
	v_cmp_ne_u32_e32 vcc, 0, v34
	v_xor_b32_e32 v4, vcc_lo, v4
	v_xor_b32_e32 v34, vcc_hi, v35
	v_and_b32_e32 v35, exec_lo, v4
	v_lshlrev_b32_e32 v4, 30, v5
	v_cmp_gt_i64_e32 vcc, 0, v[3:4]
	v_not_b32_e32 v4, v4
	v_ashrrev_i32_e32 v4, 31, v4
	v_xor_b32_e32 v36, vcc_hi, v4
	v_xor_b32_e32 v4, vcc_lo, v4
	v_and_b32_e32 v35, v35, v4
	v_lshlrev_b32_e32 v4, 29, v5
	v_cmp_gt_i64_e32 vcc, 0, v[3:4]
	v_not_b32_e32 v4, v4
	v_and_b32_e32 v34, exec_hi, v34
	v_ashrrev_i32_e32 v4, 31, v4
	v_and_b32_e32 v34, v34, v36
	v_xor_b32_e32 v36, vcc_hi, v4
	v_xor_b32_e32 v4, vcc_lo, v4
	v_and_b32_e32 v35, v35, v4
	v_lshlrev_b32_e32 v4, 28, v5
	v_cmp_gt_i64_e32 vcc, 0, v[3:4]
	v_not_b32_e32 v4, v4
	v_ashrrev_i32_e32 v4, 31, v4
	v_and_b32_e32 v34, v34, v36
	v_xor_b32_e32 v36, vcc_hi, v4
	v_xor_b32_e32 v4, vcc_lo, v4
	v_and_b32_e32 v35, v35, v4
	v_lshlrev_b32_e32 v4, 27, v5
	v_cmp_gt_i64_e32 vcc, 0, v[3:4]
	v_not_b32_e32 v4, v4
	;; [unrolled: 8-line block ×5, first 2 shown]
	v_ashrrev_i32_e32 v3, 31, v3
	v_xor_b32_e32 v4, vcc_hi, v3
	v_xor_b32_e32 v3, vcc_lo, v3
	ds_read_b32 v32, v33 offset:16
	v_and_b32_e32 v34, v34, v36
	v_and_b32_e32 v3, v35, v3
	;; [unrolled: 1-line block ×3, first 2 shown]
	v_mbcnt_lo_u32_b32 v5, v3, 0
	v_mbcnt_hi_u32_b32 v34, v4, v5
	v_cmp_ne_u64_e32 vcc, 0, v[3:4]
	v_cmp_eq_u32_e64 s[40:41], 0, v34
	s_and_b64 s[42:43], vcc, s[40:41]
	; wave barrier
	s_and_saveexec_b64 s[40:41], s[42:43]
	s_cbranch_execz .LBB15_41
; %bb.40:
	v_bcnt_u32_b32 v3, v3, 0
	v_bcnt_u32_b32 v3, v4, v3
	s_waitcnt lgkmcnt(0)
	v_add_u32_e32 v3, v32, v3
	ds_write_b32 v33, v3 offset:16
.LBB15_41:
	s_or_b64 exec, exec, s[40:41]
	v_lshrrev_b32_e32 v3, s92, v13
	v_and_b32_e32 v5, s94, v3
	v_mul_lo_u32 v3, v5, 20
	v_and_b32_e32 v4, 1, v5
	v_add_co_u32_e32 v37, vcc, -1, v4
	v_addc_co_u32_e64 v38, s[40:41], 0, -1, vcc
	v_cmp_ne_u32_e32 vcc, 0, v4
	v_xor_b32_e32 v4, vcc_hi, v38
	v_lshl_add_u32 v36, v6, 2, v3
	v_mov_b32_e32 v3, 0
	v_and_b32_e32 v38, exec_hi, v4
	v_lshlrev_b32_e32 v4, 30, v5
	v_xor_b32_e32 v37, vcc_lo, v37
	v_cmp_gt_i64_e32 vcc, 0, v[3:4]
	v_not_b32_e32 v4, v4
	v_ashrrev_i32_e32 v4, 31, v4
	v_and_b32_e32 v37, exec_lo, v37
	v_xor_b32_e32 v39, vcc_hi, v4
	v_xor_b32_e32 v4, vcc_lo, v4
	v_and_b32_e32 v37, v37, v4
	v_lshlrev_b32_e32 v4, 29, v5
	v_cmp_gt_i64_e32 vcc, 0, v[3:4]
	v_not_b32_e32 v4, v4
	v_ashrrev_i32_e32 v4, 31, v4
	v_and_b32_e32 v38, v38, v39
	v_xor_b32_e32 v39, vcc_hi, v4
	v_xor_b32_e32 v4, vcc_lo, v4
	v_and_b32_e32 v37, v37, v4
	v_lshlrev_b32_e32 v4, 28, v5
	v_cmp_gt_i64_e32 vcc, 0, v[3:4]
	v_not_b32_e32 v4, v4
	v_ashrrev_i32_e32 v4, 31, v4
	v_and_b32_e32 v38, v38, v39
	;; [unrolled: 8-line block ×5, first 2 shown]
	v_xor_b32_e32 v39, vcc_hi, v4
	v_xor_b32_e32 v4, vcc_lo, v4
	v_and_b32_e32 v37, v37, v4
	v_lshlrev_b32_e32 v4, 24, v5
	v_cmp_gt_i64_e32 vcc, 0, v[3:4]
	v_not_b32_e32 v4, v4
	v_ashrrev_i32_e32 v4, 31, v4
	v_xor_b32_e32 v5, vcc_hi, v4
	v_xor_b32_e32 v4, vcc_lo, v4
	; wave barrier
	ds_read_b32 v35, v36 offset:16
	v_and_b32_e32 v38, v38, v39
	v_and_b32_e32 v4, v37, v4
	;; [unrolled: 1-line block ×3, first 2 shown]
	v_mbcnt_lo_u32_b32 v37, v4, 0
	v_mbcnt_hi_u32_b32 v37, v5, v37
	v_cmp_ne_u64_e32 vcc, 0, v[4:5]
	v_cmp_eq_u32_e64 s[40:41], 0, v37
	s_and_b64 s[42:43], vcc, s[40:41]
	; wave barrier
	s_and_saveexec_b64 s[40:41], s[42:43]
	s_cbranch_execz .LBB15_43
; %bb.42:
	v_bcnt_u32_b32 v4, v4, 0
	v_bcnt_u32_b32 v4, v5, v4
	s_waitcnt lgkmcnt(0)
	v_add_u32_e32 v4, v35, v4
	ds_write_b32 v36, v4 offset:16
.LBB15_43:
	s_or_b64 exec, exec, s[40:41]
	v_lshrrev_b32_e32 v4, s92, v12
	v_and_b32_e32 v5, s94, v4
	v_mul_lo_u32 v4, v5, 20
	v_and_b32_e32 v40, 1, v5
	; wave barrier
	v_lshl_add_u32 v39, v6, 2, v4
	v_add_co_u32_e32 v4, vcc, -1, v40
	v_addc_co_u32_e64 v41, s[40:41], 0, -1, vcc
	v_cmp_ne_u32_e32 vcc, 0, v40
	v_xor_b32_e32 v4, vcc_lo, v4
	v_xor_b32_e32 v40, vcc_hi, v41
	v_and_b32_e32 v41, exec_lo, v4
	v_lshlrev_b32_e32 v4, 30, v5
	v_cmp_gt_i64_e32 vcc, 0, v[3:4]
	v_not_b32_e32 v4, v4
	v_ashrrev_i32_e32 v4, 31, v4
	v_xor_b32_e32 v42, vcc_hi, v4
	v_xor_b32_e32 v4, vcc_lo, v4
	v_and_b32_e32 v41, v41, v4
	v_lshlrev_b32_e32 v4, 29, v5
	v_cmp_gt_i64_e32 vcc, 0, v[3:4]
	v_not_b32_e32 v4, v4
	v_and_b32_e32 v40, exec_hi, v40
	v_ashrrev_i32_e32 v4, 31, v4
	v_and_b32_e32 v40, v40, v42
	v_xor_b32_e32 v42, vcc_hi, v4
	v_xor_b32_e32 v4, vcc_lo, v4
	v_and_b32_e32 v41, v41, v4
	v_lshlrev_b32_e32 v4, 28, v5
	v_cmp_gt_i64_e32 vcc, 0, v[3:4]
	v_not_b32_e32 v4, v4
	v_ashrrev_i32_e32 v4, 31, v4
	v_and_b32_e32 v40, v40, v42
	v_xor_b32_e32 v42, vcc_hi, v4
	v_xor_b32_e32 v4, vcc_lo, v4
	v_and_b32_e32 v41, v41, v4
	v_lshlrev_b32_e32 v4, 27, v5
	v_cmp_gt_i64_e32 vcc, 0, v[3:4]
	v_not_b32_e32 v4, v4
	;; [unrolled: 8-line block ×5, first 2 shown]
	v_ashrrev_i32_e32 v3, 31, v3
	v_xor_b32_e32 v4, vcc_hi, v3
	v_xor_b32_e32 v3, vcc_lo, v3
	ds_read_b32 v38, v39 offset:16
	v_and_b32_e32 v40, v40, v42
	v_and_b32_e32 v3, v41, v3
	;; [unrolled: 1-line block ×3, first 2 shown]
	v_mbcnt_lo_u32_b32 v5, v3, 0
	v_mbcnt_hi_u32_b32 v40, v4, v5
	v_cmp_ne_u64_e32 vcc, 0, v[3:4]
	v_cmp_eq_u32_e64 s[40:41], 0, v40
	s_and_b64 s[42:43], vcc, s[40:41]
	; wave barrier
	s_and_saveexec_b64 s[40:41], s[42:43]
	s_cbranch_execz .LBB15_45
; %bb.44:
	v_bcnt_u32_b32 v3, v3, 0
	v_bcnt_u32_b32 v3, v4, v3
	s_waitcnt lgkmcnt(0)
	v_add_u32_e32 v3, v38, v3
	ds_write_b32 v39, v3 offset:16
.LBB15_45:
	s_or_b64 exec, exec, s[40:41]
	v_lshrrev_b32_e32 v3, s92, v15
	v_and_b32_e32 v5, s94, v3
	v_mul_lo_u32 v3, v5, 20
	v_and_b32_e32 v4, 1, v5
	v_add_co_u32_e32 v43, vcc, -1, v4
	v_addc_co_u32_e64 v44, s[40:41], 0, -1, vcc
	v_cmp_ne_u32_e32 vcc, 0, v4
	v_xor_b32_e32 v4, vcc_hi, v44
	v_lshl_add_u32 v42, v6, 2, v3
	v_mov_b32_e32 v3, 0
	v_and_b32_e32 v44, exec_hi, v4
	v_lshlrev_b32_e32 v4, 30, v5
	v_xor_b32_e32 v43, vcc_lo, v43
	v_cmp_gt_i64_e32 vcc, 0, v[3:4]
	v_not_b32_e32 v4, v4
	v_ashrrev_i32_e32 v4, 31, v4
	v_and_b32_e32 v43, exec_lo, v43
	v_xor_b32_e32 v45, vcc_hi, v4
	v_xor_b32_e32 v4, vcc_lo, v4
	v_and_b32_e32 v43, v43, v4
	v_lshlrev_b32_e32 v4, 29, v5
	v_cmp_gt_i64_e32 vcc, 0, v[3:4]
	v_not_b32_e32 v4, v4
	v_ashrrev_i32_e32 v4, 31, v4
	v_and_b32_e32 v44, v44, v45
	v_xor_b32_e32 v45, vcc_hi, v4
	v_xor_b32_e32 v4, vcc_lo, v4
	v_and_b32_e32 v43, v43, v4
	v_lshlrev_b32_e32 v4, 28, v5
	v_cmp_gt_i64_e32 vcc, 0, v[3:4]
	v_not_b32_e32 v4, v4
	v_ashrrev_i32_e32 v4, 31, v4
	v_and_b32_e32 v44, v44, v45
	;; [unrolled: 8-line block ×5, first 2 shown]
	v_xor_b32_e32 v45, vcc_hi, v4
	v_xor_b32_e32 v4, vcc_lo, v4
	v_and_b32_e32 v43, v43, v4
	v_lshlrev_b32_e32 v4, 24, v5
	v_cmp_gt_i64_e32 vcc, 0, v[3:4]
	v_not_b32_e32 v4, v4
	v_ashrrev_i32_e32 v4, 31, v4
	v_xor_b32_e32 v5, vcc_hi, v4
	v_xor_b32_e32 v4, vcc_lo, v4
	; wave barrier
	ds_read_b32 v41, v42 offset:16
	v_and_b32_e32 v44, v44, v45
	v_and_b32_e32 v4, v43, v4
	;; [unrolled: 1-line block ×3, first 2 shown]
	v_mbcnt_lo_u32_b32 v43, v4, 0
	v_mbcnt_hi_u32_b32 v43, v5, v43
	v_cmp_ne_u64_e32 vcc, 0, v[4:5]
	v_cmp_eq_u32_e64 s[40:41], 0, v43
	s_and_b64 s[42:43], vcc, s[40:41]
	; wave barrier
	s_and_saveexec_b64 s[40:41], s[42:43]
	s_cbranch_execz .LBB15_47
; %bb.46:
	v_bcnt_u32_b32 v4, v4, 0
	v_bcnt_u32_b32 v4, v5, v4
	s_waitcnt lgkmcnt(0)
	v_add_u32_e32 v4, v41, v4
	ds_write_b32 v42, v4 offset:16
.LBB15_47:
	s_or_b64 exec, exec, s[40:41]
	v_lshrrev_b32_e32 v4, s92, v14
	v_and_b32_e32 v5, s94, v4
	v_mul_lo_u32 v4, v5, 20
	v_and_b32_e32 v46, 1, v5
	; wave barrier
	v_lshl_add_u32 v45, v6, 2, v4
	v_add_co_u32_e32 v4, vcc, -1, v46
	v_addc_co_u32_e64 v47, s[40:41], 0, -1, vcc
	v_cmp_ne_u32_e32 vcc, 0, v46
	v_xor_b32_e32 v4, vcc_lo, v4
	v_xor_b32_e32 v46, vcc_hi, v47
	v_and_b32_e32 v47, exec_lo, v4
	v_lshlrev_b32_e32 v4, 30, v5
	v_cmp_gt_i64_e32 vcc, 0, v[3:4]
	v_not_b32_e32 v4, v4
	v_ashrrev_i32_e32 v4, 31, v4
	v_xor_b32_e32 v48, vcc_hi, v4
	v_xor_b32_e32 v4, vcc_lo, v4
	v_and_b32_e32 v47, v47, v4
	v_lshlrev_b32_e32 v4, 29, v5
	v_cmp_gt_i64_e32 vcc, 0, v[3:4]
	v_not_b32_e32 v4, v4
	v_and_b32_e32 v46, exec_hi, v46
	v_ashrrev_i32_e32 v4, 31, v4
	v_and_b32_e32 v46, v46, v48
	v_xor_b32_e32 v48, vcc_hi, v4
	v_xor_b32_e32 v4, vcc_lo, v4
	v_and_b32_e32 v47, v47, v4
	v_lshlrev_b32_e32 v4, 28, v5
	v_cmp_gt_i64_e32 vcc, 0, v[3:4]
	v_not_b32_e32 v4, v4
	v_ashrrev_i32_e32 v4, 31, v4
	v_and_b32_e32 v46, v46, v48
	v_xor_b32_e32 v48, vcc_hi, v4
	v_xor_b32_e32 v4, vcc_lo, v4
	v_and_b32_e32 v47, v47, v4
	v_lshlrev_b32_e32 v4, 27, v5
	v_cmp_gt_i64_e32 vcc, 0, v[3:4]
	v_not_b32_e32 v4, v4
	;; [unrolled: 8-line block ×5, first 2 shown]
	v_ashrrev_i32_e32 v3, 31, v3
	v_xor_b32_e32 v4, vcc_hi, v3
	v_xor_b32_e32 v3, vcc_lo, v3
	ds_read_b32 v44, v45 offset:16
	v_and_b32_e32 v46, v46, v48
	v_and_b32_e32 v3, v47, v3
	;; [unrolled: 1-line block ×3, first 2 shown]
	v_mbcnt_lo_u32_b32 v5, v3, 0
	v_mbcnt_hi_u32_b32 v46, v4, v5
	v_cmp_ne_u64_e32 vcc, 0, v[3:4]
	v_cmp_eq_u32_e64 s[40:41], 0, v46
	s_and_b64 s[42:43], vcc, s[40:41]
	; wave barrier
	s_and_saveexec_b64 s[40:41], s[42:43]
	s_cbranch_execz .LBB15_49
; %bb.48:
	v_bcnt_u32_b32 v3, v3, 0
	v_bcnt_u32_b32 v3, v4, v3
	s_waitcnt lgkmcnt(0)
	v_add_u32_e32 v3, v44, v3
	ds_write_b32 v45, v3 offset:16
.LBB15_49:
	s_or_b64 exec, exec, s[40:41]
	v_lshrrev_b32_e32 v3, s92, v17
	v_and_b32_e32 v5, s94, v3
	v_mul_lo_u32 v3, v5, 20
	v_and_b32_e32 v4, 1, v5
	v_add_co_u32_e32 v49, vcc, -1, v4
	v_addc_co_u32_e64 v50, s[40:41], 0, -1, vcc
	v_cmp_ne_u32_e32 vcc, 0, v4
	v_xor_b32_e32 v4, vcc_hi, v50
	v_lshl_add_u32 v48, v6, 2, v3
	v_mov_b32_e32 v3, 0
	v_and_b32_e32 v50, exec_hi, v4
	v_lshlrev_b32_e32 v4, 30, v5
	v_xor_b32_e32 v49, vcc_lo, v49
	v_cmp_gt_i64_e32 vcc, 0, v[3:4]
	v_not_b32_e32 v4, v4
	v_ashrrev_i32_e32 v4, 31, v4
	v_and_b32_e32 v49, exec_lo, v49
	v_xor_b32_e32 v51, vcc_hi, v4
	v_xor_b32_e32 v4, vcc_lo, v4
	v_and_b32_e32 v49, v49, v4
	v_lshlrev_b32_e32 v4, 29, v5
	v_cmp_gt_i64_e32 vcc, 0, v[3:4]
	v_not_b32_e32 v4, v4
	v_ashrrev_i32_e32 v4, 31, v4
	v_and_b32_e32 v50, v50, v51
	v_xor_b32_e32 v51, vcc_hi, v4
	v_xor_b32_e32 v4, vcc_lo, v4
	v_and_b32_e32 v49, v49, v4
	v_lshlrev_b32_e32 v4, 28, v5
	v_cmp_gt_i64_e32 vcc, 0, v[3:4]
	v_not_b32_e32 v4, v4
	v_ashrrev_i32_e32 v4, 31, v4
	v_and_b32_e32 v50, v50, v51
	;; [unrolled: 8-line block ×5, first 2 shown]
	v_xor_b32_e32 v51, vcc_hi, v4
	v_xor_b32_e32 v4, vcc_lo, v4
	v_and_b32_e32 v49, v49, v4
	v_lshlrev_b32_e32 v4, 24, v5
	v_cmp_gt_i64_e32 vcc, 0, v[3:4]
	v_not_b32_e32 v4, v4
	v_ashrrev_i32_e32 v4, 31, v4
	v_xor_b32_e32 v5, vcc_hi, v4
	v_xor_b32_e32 v4, vcc_lo, v4
	; wave barrier
	ds_read_b32 v47, v48 offset:16
	v_and_b32_e32 v50, v50, v51
	v_and_b32_e32 v4, v49, v4
	;; [unrolled: 1-line block ×3, first 2 shown]
	v_mbcnt_lo_u32_b32 v49, v4, 0
	v_mbcnt_hi_u32_b32 v49, v5, v49
	v_cmp_ne_u64_e32 vcc, 0, v[4:5]
	v_cmp_eq_u32_e64 s[40:41], 0, v49
	s_and_b64 s[42:43], vcc, s[40:41]
	; wave barrier
	s_and_saveexec_b64 s[40:41], s[42:43]
	s_cbranch_execz .LBB15_51
; %bb.50:
	v_bcnt_u32_b32 v4, v4, 0
	v_bcnt_u32_b32 v4, v5, v4
	s_waitcnt lgkmcnt(0)
	v_add_u32_e32 v4, v47, v4
	ds_write_b32 v48, v4 offset:16
.LBB15_51:
	s_or_b64 exec, exec, s[40:41]
	v_lshrrev_b32_e32 v4, s92, v16
	v_and_b32_e32 v5, s94, v4
	v_mul_lo_u32 v4, v5, 20
	v_and_b32_e32 v52, 1, v5
	; wave barrier
	v_lshl_add_u32 v51, v6, 2, v4
	v_add_co_u32_e32 v4, vcc, -1, v52
	v_addc_co_u32_e64 v53, s[40:41], 0, -1, vcc
	v_cmp_ne_u32_e32 vcc, 0, v52
	v_xor_b32_e32 v4, vcc_lo, v4
	v_xor_b32_e32 v52, vcc_hi, v53
	v_and_b32_e32 v53, exec_lo, v4
	v_lshlrev_b32_e32 v4, 30, v5
	v_cmp_gt_i64_e32 vcc, 0, v[3:4]
	v_not_b32_e32 v4, v4
	v_ashrrev_i32_e32 v4, 31, v4
	v_xor_b32_e32 v54, vcc_hi, v4
	v_xor_b32_e32 v4, vcc_lo, v4
	v_and_b32_e32 v53, v53, v4
	v_lshlrev_b32_e32 v4, 29, v5
	v_cmp_gt_i64_e32 vcc, 0, v[3:4]
	v_not_b32_e32 v4, v4
	v_and_b32_e32 v52, exec_hi, v52
	v_ashrrev_i32_e32 v4, 31, v4
	v_and_b32_e32 v52, v52, v54
	v_xor_b32_e32 v54, vcc_hi, v4
	v_xor_b32_e32 v4, vcc_lo, v4
	v_and_b32_e32 v53, v53, v4
	v_lshlrev_b32_e32 v4, 28, v5
	v_cmp_gt_i64_e32 vcc, 0, v[3:4]
	v_not_b32_e32 v4, v4
	v_ashrrev_i32_e32 v4, 31, v4
	v_and_b32_e32 v52, v52, v54
	v_xor_b32_e32 v54, vcc_hi, v4
	v_xor_b32_e32 v4, vcc_lo, v4
	v_and_b32_e32 v53, v53, v4
	v_lshlrev_b32_e32 v4, 27, v5
	v_cmp_gt_i64_e32 vcc, 0, v[3:4]
	v_not_b32_e32 v4, v4
	;; [unrolled: 8-line block ×5, first 2 shown]
	v_ashrrev_i32_e32 v3, 31, v3
	v_xor_b32_e32 v4, vcc_hi, v3
	v_xor_b32_e32 v3, vcc_lo, v3
	ds_read_b32 v50, v51 offset:16
	v_and_b32_e32 v52, v52, v54
	v_and_b32_e32 v3, v53, v3
	;; [unrolled: 1-line block ×3, first 2 shown]
	v_mbcnt_lo_u32_b32 v5, v3, 0
	v_mbcnt_hi_u32_b32 v52, v4, v5
	v_cmp_ne_u64_e32 vcc, 0, v[3:4]
	v_cmp_eq_u32_e64 s[40:41], 0, v52
	s_and_b64 s[42:43], vcc, s[40:41]
	; wave barrier
	s_and_saveexec_b64 s[40:41], s[42:43]
	s_cbranch_execz .LBB15_53
; %bb.52:
	v_bcnt_u32_b32 v3, v3, 0
	v_bcnt_u32_b32 v3, v4, v3
	s_waitcnt lgkmcnt(0)
	v_add_u32_e32 v3, v50, v3
	ds_write_b32 v51, v3 offset:16
.LBB15_53:
	s_or_b64 exec, exec, s[40:41]
	v_lshrrev_b32_e32 v3, s92, v19
	v_and_b32_e32 v5, s94, v3
	v_mul_lo_u32 v3, v5, 20
	v_and_b32_e32 v4, 1, v5
	v_add_co_u32_e32 v55, vcc, -1, v4
	v_addc_co_u32_e64 v56, s[40:41], 0, -1, vcc
	v_cmp_ne_u32_e32 vcc, 0, v4
	v_xor_b32_e32 v4, vcc_hi, v56
	v_lshl_add_u32 v54, v6, 2, v3
	v_mov_b32_e32 v3, 0
	v_and_b32_e32 v56, exec_hi, v4
	v_lshlrev_b32_e32 v4, 30, v5
	v_xor_b32_e32 v55, vcc_lo, v55
	v_cmp_gt_i64_e32 vcc, 0, v[3:4]
	v_not_b32_e32 v4, v4
	v_ashrrev_i32_e32 v4, 31, v4
	v_and_b32_e32 v55, exec_lo, v55
	v_xor_b32_e32 v57, vcc_hi, v4
	v_xor_b32_e32 v4, vcc_lo, v4
	v_and_b32_e32 v55, v55, v4
	v_lshlrev_b32_e32 v4, 29, v5
	v_cmp_gt_i64_e32 vcc, 0, v[3:4]
	v_not_b32_e32 v4, v4
	v_ashrrev_i32_e32 v4, 31, v4
	v_and_b32_e32 v56, v56, v57
	v_xor_b32_e32 v57, vcc_hi, v4
	v_xor_b32_e32 v4, vcc_lo, v4
	v_and_b32_e32 v55, v55, v4
	v_lshlrev_b32_e32 v4, 28, v5
	v_cmp_gt_i64_e32 vcc, 0, v[3:4]
	v_not_b32_e32 v4, v4
	v_ashrrev_i32_e32 v4, 31, v4
	v_and_b32_e32 v56, v56, v57
	;; [unrolled: 8-line block ×5, first 2 shown]
	v_xor_b32_e32 v57, vcc_hi, v4
	v_xor_b32_e32 v4, vcc_lo, v4
	v_and_b32_e32 v55, v55, v4
	v_lshlrev_b32_e32 v4, 24, v5
	v_cmp_gt_i64_e32 vcc, 0, v[3:4]
	v_not_b32_e32 v4, v4
	v_ashrrev_i32_e32 v4, 31, v4
	v_xor_b32_e32 v5, vcc_hi, v4
	v_xor_b32_e32 v4, vcc_lo, v4
	; wave barrier
	ds_read_b32 v53, v54 offset:16
	v_and_b32_e32 v56, v56, v57
	v_and_b32_e32 v4, v55, v4
	;; [unrolled: 1-line block ×3, first 2 shown]
	v_mbcnt_lo_u32_b32 v55, v4, 0
	v_mbcnt_hi_u32_b32 v55, v5, v55
	v_cmp_ne_u64_e32 vcc, 0, v[4:5]
	v_cmp_eq_u32_e64 s[40:41], 0, v55
	s_and_b64 s[42:43], vcc, s[40:41]
	; wave barrier
	s_and_saveexec_b64 s[40:41], s[42:43]
	s_cbranch_execz .LBB15_55
; %bb.54:
	v_bcnt_u32_b32 v4, v4, 0
	v_bcnt_u32_b32 v4, v5, v4
	s_waitcnt lgkmcnt(0)
	v_add_u32_e32 v4, v53, v4
	ds_write_b32 v54, v4 offset:16
.LBB15_55:
	s_or_b64 exec, exec, s[40:41]
	v_lshrrev_b32_e32 v4, s92, v18
	v_and_b32_e32 v5, s94, v4
	v_mul_lo_u32 v4, v5, 20
	v_and_b32_e32 v58, 1, v5
	; wave barrier
	v_lshl_add_u32 v57, v6, 2, v4
	v_add_co_u32_e32 v4, vcc, -1, v58
	v_addc_co_u32_e64 v59, s[40:41], 0, -1, vcc
	v_cmp_ne_u32_e32 vcc, 0, v58
	v_xor_b32_e32 v4, vcc_lo, v4
	v_xor_b32_e32 v58, vcc_hi, v59
	v_and_b32_e32 v59, exec_lo, v4
	v_lshlrev_b32_e32 v4, 30, v5
	v_cmp_gt_i64_e32 vcc, 0, v[3:4]
	v_not_b32_e32 v4, v4
	v_ashrrev_i32_e32 v4, 31, v4
	v_xor_b32_e32 v60, vcc_hi, v4
	v_xor_b32_e32 v4, vcc_lo, v4
	v_and_b32_e32 v59, v59, v4
	v_lshlrev_b32_e32 v4, 29, v5
	v_cmp_gt_i64_e32 vcc, 0, v[3:4]
	v_not_b32_e32 v4, v4
	v_and_b32_e32 v58, exec_hi, v58
	v_ashrrev_i32_e32 v4, 31, v4
	v_and_b32_e32 v58, v58, v60
	v_xor_b32_e32 v60, vcc_hi, v4
	v_xor_b32_e32 v4, vcc_lo, v4
	v_and_b32_e32 v59, v59, v4
	v_lshlrev_b32_e32 v4, 28, v5
	v_cmp_gt_i64_e32 vcc, 0, v[3:4]
	v_not_b32_e32 v4, v4
	v_ashrrev_i32_e32 v4, 31, v4
	v_and_b32_e32 v58, v58, v60
	v_xor_b32_e32 v60, vcc_hi, v4
	v_xor_b32_e32 v4, vcc_lo, v4
	v_and_b32_e32 v59, v59, v4
	v_lshlrev_b32_e32 v4, 27, v5
	v_cmp_gt_i64_e32 vcc, 0, v[3:4]
	v_not_b32_e32 v4, v4
	;; [unrolled: 8-line block ×5, first 2 shown]
	v_ashrrev_i32_e32 v3, 31, v3
	v_xor_b32_e32 v4, vcc_hi, v3
	v_xor_b32_e32 v3, vcc_lo, v3
	ds_read_b32 v56, v57 offset:16
	v_and_b32_e32 v58, v58, v60
	v_and_b32_e32 v3, v59, v3
	;; [unrolled: 1-line block ×3, first 2 shown]
	v_mbcnt_lo_u32_b32 v5, v3, 0
	v_mbcnt_hi_u32_b32 v58, v4, v5
	v_cmp_ne_u64_e32 vcc, 0, v[3:4]
	v_cmp_eq_u32_e64 s[40:41], 0, v58
	s_and_b64 s[42:43], vcc, s[40:41]
	; wave barrier
	s_and_saveexec_b64 s[40:41], s[42:43]
	s_cbranch_execz .LBB15_57
; %bb.56:
	v_bcnt_u32_b32 v3, v3, 0
	v_bcnt_u32_b32 v3, v4, v3
	s_waitcnt lgkmcnt(0)
	v_add_u32_e32 v3, v56, v3
	ds_write_b32 v57, v3 offset:16
.LBB15_57:
	s_or_b64 exec, exec, s[40:41]
	v_lshrrev_b32_e32 v3, s92, v22
	v_and_b32_e32 v5, s94, v3
	v_mul_lo_u32 v3, v5, 20
	v_and_b32_e32 v4, 1, v5
	v_add_co_u32_e32 v61, vcc, -1, v4
	v_addc_co_u32_e64 v62, s[40:41], 0, -1, vcc
	v_cmp_ne_u32_e32 vcc, 0, v4
	v_xor_b32_e32 v4, vcc_hi, v62
	v_lshl_add_u32 v60, v6, 2, v3
	v_mov_b32_e32 v3, 0
	v_and_b32_e32 v62, exec_hi, v4
	v_lshlrev_b32_e32 v4, 30, v5
	v_xor_b32_e32 v61, vcc_lo, v61
	v_cmp_gt_i64_e32 vcc, 0, v[3:4]
	v_not_b32_e32 v4, v4
	v_ashrrev_i32_e32 v4, 31, v4
	v_and_b32_e32 v61, exec_lo, v61
	v_xor_b32_e32 v63, vcc_hi, v4
	v_xor_b32_e32 v4, vcc_lo, v4
	v_and_b32_e32 v61, v61, v4
	v_lshlrev_b32_e32 v4, 29, v5
	v_cmp_gt_i64_e32 vcc, 0, v[3:4]
	v_not_b32_e32 v4, v4
	v_ashrrev_i32_e32 v4, 31, v4
	v_and_b32_e32 v62, v62, v63
	v_xor_b32_e32 v63, vcc_hi, v4
	v_xor_b32_e32 v4, vcc_lo, v4
	v_and_b32_e32 v61, v61, v4
	v_lshlrev_b32_e32 v4, 28, v5
	v_cmp_gt_i64_e32 vcc, 0, v[3:4]
	v_not_b32_e32 v4, v4
	v_ashrrev_i32_e32 v4, 31, v4
	v_and_b32_e32 v62, v62, v63
	;; [unrolled: 8-line block ×5, first 2 shown]
	v_xor_b32_e32 v63, vcc_hi, v4
	v_xor_b32_e32 v4, vcc_lo, v4
	v_and_b32_e32 v61, v61, v4
	v_lshlrev_b32_e32 v4, 24, v5
	v_cmp_gt_i64_e32 vcc, 0, v[3:4]
	v_not_b32_e32 v4, v4
	v_ashrrev_i32_e32 v4, 31, v4
	v_xor_b32_e32 v5, vcc_hi, v4
	v_xor_b32_e32 v4, vcc_lo, v4
	; wave barrier
	ds_read_b32 v59, v60 offset:16
	v_and_b32_e32 v62, v62, v63
	v_and_b32_e32 v4, v61, v4
	;; [unrolled: 1-line block ×3, first 2 shown]
	v_mbcnt_lo_u32_b32 v61, v4, 0
	v_mbcnt_hi_u32_b32 v61, v5, v61
	v_cmp_ne_u64_e32 vcc, 0, v[4:5]
	v_cmp_eq_u32_e64 s[40:41], 0, v61
	s_and_b64 s[42:43], vcc, s[40:41]
	; wave barrier
	s_and_saveexec_b64 s[40:41], s[42:43]
	s_cbranch_execz .LBB15_59
; %bb.58:
	v_bcnt_u32_b32 v4, v4, 0
	v_bcnt_u32_b32 v4, v5, v4
	s_waitcnt lgkmcnt(0)
	v_add_u32_e32 v4, v59, v4
	ds_write_b32 v60, v4 offset:16
.LBB15_59:
	s_or_b64 exec, exec, s[40:41]
	v_lshrrev_b32_e32 v4, s92, v21
	v_and_b32_e32 v5, s94, v4
	v_mul_lo_u32 v4, v5, 20
	v_and_b32_e32 v64, 1, v5
	; wave barrier
	v_lshl_add_u32 v63, v6, 2, v4
	v_add_co_u32_e32 v4, vcc, -1, v64
	v_addc_co_u32_e64 v65, s[40:41], 0, -1, vcc
	v_cmp_ne_u32_e32 vcc, 0, v64
	v_xor_b32_e32 v4, vcc_lo, v4
	v_xor_b32_e32 v64, vcc_hi, v65
	v_and_b32_e32 v65, exec_lo, v4
	v_lshlrev_b32_e32 v4, 30, v5
	v_cmp_gt_i64_e32 vcc, 0, v[3:4]
	v_not_b32_e32 v4, v4
	v_ashrrev_i32_e32 v4, 31, v4
	v_xor_b32_e32 v66, vcc_hi, v4
	v_xor_b32_e32 v4, vcc_lo, v4
	v_and_b32_e32 v65, v65, v4
	v_lshlrev_b32_e32 v4, 29, v5
	v_cmp_gt_i64_e32 vcc, 0, v[3:4]
	v_not_b32_e32 v4, v4
	v_and_b32_e32 v64, exec_hi, v64
	v_ashrrev_i32_e32 v4, 31, v4
	v_and_b32_e32 v64, v64, v66
	v_xor_b32_e32 v66, vcc_hi, v4
	v_xor_b32_e32 v4, vcc_lo, v4
	v_and_b32_e32 v65, v65, v4
	v_lshlrev_b32_e32 v4, 28, v5
	v_cmp_gt_i64_e32 vcc, 0, v[3:4]
	v_not_b32_e32 v4, v4
	v_ashrrev_i32_e32 v4, 31, v4
	v_and_b32_e32 v64, v64, v66
	v_xor_b32_e32 v66, vcc_hi, v4
	v_xor_b32_e32 v4, vcc_lo, v4
	v_and_b32_e32 v65, v65, v4
	v_lshlrev_b32_e32 v4, 27, v5
	v_cmp_gt_i64_e32 vcc, 0, v[3:4]
	v_not_b32_e32 v4, v4
	;; [unrolled: 8-line block ×5, first 2 shown]
	v_ashrrev_i32_e32 v3, 31, v3
	v_xor_b32_e32 v4, vcc_hi, v3
	v_xor_b32_e32 v3, vcc_lo, v3
	ds_read_b32 v62, v63 offset:16
	v_and_b32_e32 v64, v64, v66
	v_and_b32_e32 v3, v65, v3
	;; [unrolled: 1-line block ×3, first 2 shown]
	v_mbcnt_lo_u32_b32 v5, v3, 0
	v_mbcnt_hi_u32_b32 v64, v4, v5
	v_cmp_ne_u64_e32 vcc, 0, v[3:4]
	v_cmp_eq_u32_e64 s[40:41], 0, v64
	s_and_b64 s[42:43], vcc, s[40:41]
	; wave barrier
	s_and_saveexec_b64 s[40:41], s[42:43]
	s_cbranch_execz .LBB15_61
; %bb.60:
	v_bcnt_u32_b32 v3, v3, 0
	v_bcnt_u32_b32 v3, v4, v3
	s_waitcnt lgkmcnt(0)
	v_add_u32_e32 v3, v62, v3
	ds_write_b32 v63, v3 offset:16
.LBB15_61:
	s_or_b64 exec, exec, s[40:41]
	v_lshrrev_b32_e32 v3, s92, v24
	v_and_b32_e32 v5, s94, v3
	v_mul_lo_u32 v3, v5, 20
	v_and_b32_e32 v4, 1, v5
	v_add_co_u32_e32 v67, vcc, -1, v4
	v_addc_co_u32_e64 v68, s[40:41], 0, -1, vcc
	v_cmp_ne_u32_e32 vcc, 0, v4
	v_xor_b32_e32 v4, vcc_hi, v68
	v_lshl_add_u32 v66, v6, 2, v3
	v_mov_b32_e32 v3, 0
	v_and_b32_e32 v68, exec_hi, v4
	v_lshlrev_b32_e32 v4, 30, v5
	v_xor_b32_e32 v67, vcc_lo, v67
	v_cmp_gt_i64_e32 vcc, 0, v[3:4]
	v_not_b32_e32 v4, v4
	v_ashrrev_i32_e32 v4, 31, v4
	v_and_b32_e32 v67, exec_lo, v67
	v_xor_b32_e32 v69, vcc_hi, v4
	v_xor_b32_e32 v4, vcc_lo, v4
	v_and_b32_e32 v67, v67, v4
	v_lshlrev_b32_e32 v4, 29, v5
	v_cmp_gt_i64_e32 vcc, 0, v[3:4]
	v_not_b32_e32 v4, v4
	v_ashrrev_i32_e32 v4, 31, v4
	v_and_b32_e32 v68, v68, v69
	v_xor_b32_e32 v69, vcc_hi, v4
	v_xor_b32_e32 v4, vcc_lo, v4
	v_and_b32_e32 v67, v67, v4
	v_lshlrev_b32_e32 v4, 28, v5
	v_cmp_gt_i64_e32 vcc, 0, v[3:4]
	v_not_b32_e32 v4, v4
	v_ashrrev_i32_e32 v4, 31, v4
	v_and_b32_e32 v68, v68, v69
	;; [unrolled: 8-line block ×5, first 2 shown]
	v_xor_b32_e32 v69, vcc_hi, v4
	v_xor_b32_e32 v4, vcc_lo, v4
	v_and_b32_e32 v67, v67, v4
	v_lshlrev_b32_e32 v4, 24, v5
	v_cmp_gt_i64_e32 vcc, 0, v[3:4]
	v_not_b32_e32 v4, v4
	v_ashrrev_i32_e32 v4, 31, v4
	v_xor_b32_e32 v5, vcc_hi, v4
	v_xor_b32_e32 v4, vcc_lo, v4
	; wave barrier
	ds_read_b32 v65, v66 offset:16
	v_and_b32_e32 v68, v68, v69
	v_and_b32_e32 v4, v67, v4
	;; [unrolled: 1-line block ×3, first 2 shown]
	v_mbcnt_lo_u32_b32 v67, v4, 0
	v_mbcnt_hi_u32_b32 v67, v5, v67
	v_cmp_ne_u64_e32 vcc, 0, v[4:5]
	v_cmp_eq_u32_e64 s[40:41], 0, v67
	s_and_b64 s[42:43], vcc, s[40:41]
	; wave barrier
	s_and_saveexec_b64 s[40:41], s[42:43]
	s_cbranch_execz .LBB15_63
; %bb.62:
	v_bcnt_u32_b32 v4, v4, 0
	v_bcnt_u32_b32 v4, v5, v4
	s_waitcnt lgkmcnt(0)
	v_add_u32_e32 v4, v65, v4
	ds_write_b32 v66, v4 offset:16
.LBB15_63:
	s_or_b64 exec, exec, s[40:41]
	v_lshrrev_b32_e32 v4, s92, v23
	v_and_b32_e32 v5, s94, v4
	v_mul_lo_u32 v4, v5, 20
	v_and_b32_e32 v70, 1, v5
	; wave barrier
	v_lshl_add_u32 v69, v6, 2, v4
	v_add_co_u32_e32 v4, vcc, -1, v70
	v_addc_co_u32_e64 v71, s[40:41], 0, -1, vcc
	v_cmp_ne_u32_e32 vcc, 0, v70
	v_xor_b32_e32 v4, vcc_lo, v4
	v_xor_b32_e32 v70, vcc_hi, v71
	v_and_b32_e32 v71, exec_lo, v4
	v_lshlrev_b32_e32 v4, 30, v5
	v_cmp_gt_i64_e32 vcc, 0, v[3:4]
	v_not_b32_e32 v4, v4
	v_ashrrev_i32_e32 v4, 31, v4
	v_xor_b32_e32 v72, vcc_hi, v4
	v_xor_b32_e32 v4, vcc_lo, v4
	v_and_b32_e32 v71, v71, v4
	v_lshlrev_b32_e32 v4, 29, v5
	v_cmp_gt_i64_e32 vcc, 0, v[3:4]
	v_not_b32_e32 v4, v4
	v_and_b32_e32 v70, exec_hi, v70
	v_ashrrev_i32_e32 v4, 31, v4
	v_and_b32_e32 v70, v70, v72
	v_xor_b32_e32 v72, vcc_hi, v4
	v_xor_b32_e32 v4, vcc_lo, v4
	v_and_b32_e32 v71, v71, v4
	v_lshlrev_b32_e32 v4, 28, v5
	v_cmp_gt_i64_e32 vcc, 0, v[3:4]
	v_not_b32_e32 v4, v4
	v_ashrrev_i32_e32 v4, 31, v4
	v_and_b32_e32 v70, v70, v72
	v_xor_b32_e32 v72, vcc_hi, v4
	v_xor_b32_e32 v4, vcc_lo, v4
	v_and_b32_e32 v71, v71, v4
	v_lshlrev_b32_e32 v4, 27, v5
	v_cmp_gt_i64_e32 vcc, 0, v[3:4]
	v_not_b32_e32 v4, v4
	;; [unrolled: 8-line block ×5, first 2 shown]
	v_ashrrev_i32_e32 v3, 31, v3
	v_xor_b32_e32 v4, vcc_hi, v3
	v_xor_b32_e32 v3, vcc_lo, v3
	ds_read_b32 v68, v69 offset:16
	v_and_b32_e32 v70, v70, v72
	v_and_b32_e32 v3, v71, v3
	;; [unrolled: 1-line block ×3, first 2 shown]
	v_mbcnt_lo_u32_b32 v5, v3, 0
	v_mbcnt_hi_u32_b32 v70, v4, v5
	v_cmp_ne_u64_e32 vcc, 0, v[3:4]
	v_cmp_eq_u32_e64 s[40:41], 0, v70
	s_and_b64 s[42:43], vcc, s[40:41]
	; wave barrier
	s_and_saveexec_b64 s[40:41], s[42:43]
	s_cbranch_execz .LBB15_65
; %bb.64:
	v_bcnt_u32_b32 v3, v3, 0
	v_bcnt_u32_b32 v3, v4, v3
	s_waitcnt lgkmcnt(0)
	v_add_u32_e32 v3, v68, v3
	ds_write_b32 v69, v3 offset:16
.LBB15_65:
	s_or_b64 exec, exec, s[40:41]
	v_lshrrev_b32_e32 v3, s92, v26
	v_and_b32_e32 v5, s94, v3
	v_mul_lo_u32 v3, v5, 20
	v_and_b32_e32 v4, 1, v5
	v_add_co_u32_e32 v73, vcc, -1, v4
	v_addc_co_u32_e64 v74, s[40:41], 0, -1, vcc
	v_cmp_ne_u32_e32 vcc, 0, v4
	v_xor_b32_e32 v4, vcc_hi, v74
	v_lshl_add_u32 v72, v6, 2, v3
	v_mov_b32_e32 v3, 0
	v_and_b32_e32 v74, exec_hi, v4
	v_lshlrev_b32_e32 v4, 30, v5
	v_xor_b32_e32 v73, vcc_lo, v73
	v_cmp_gt_i64_e32 vcc, 0, v[3:4]
	v_not_b32_e32 v4, v4
	v_ashrrev_i32_e32 v4, 31, v4
	v_and_b32_e32 v73, exec_lo, v73
	v_xor_b32_e32 v75, vcc_hi, v4
	v_xor_b32_e32 v4, vcc_lo, v4
	v_and_b32_e32 v73, v73, v4
	v_lshlrev_b32_e32 v4, 29, v5
	v_cmp_gt_i64_e32 vcc, 0, v[3:4]
	v_not_b32_e32 v4, v4
	v_ashrrev_i32_e32 v4, 31, v4
	v_and_b32_e32 v74, v74, v75
	v_xor_b32_e32 v75, vcc_hi, v4
	v_xor_b32_e32 v4, vcc_lo, v4
	v_and_b32_e32 v73, v73, v4
	v_lshlrev_b32_e32 v4, 28, v5
	v_cmp_gt_i64_e32 vcc, 0, v[3:4]
	v_not_b32_e32 v4, v4
	v_ashrrev_i32_e32 v4, 31, v4
	v_and_b32_e32 v74, v74, v75
	;; [unrolled: 8-line block ×5, first 2 shown]
	v_xor_b32_e32 v75, vcc_hi, v4
	v_xor_b32_e32 v4, vcc_lo, v4
	v_and_b32_e32 v73, v73, v4
	v_lshlrev_b32_e32 v4, 24, v5
	v_cmp_gt_i64_e32 vcc, 0, v[3:4]
	v_not_b32_e32 v4, v4
	v_ashrrev_i32_e32 v4, 31, v4
	v_xor_b32_e32 v5, vcc_hi, v4
	v_xor_b32_e32 v4, vcc_lo, v4
	; wave barrier
	ds_read_b32 v71, v72 offset:16
	v_and_b32_e32 v74, v74, v75
	v_and_b32_e32 v4, v73, v4
	;; [unrolled: 1-line block ×3, first 2 shown]
	v_mbcnt_lo_u32_b32 v73, v4, 0
	v_mbcnt_hi_u32_b32 v73, v5, v73
	v_cmp_ne_u64_e32 vcc, 0, v[4:5]
	v_cmp_eq_u32_e64 s[40:41], 0, v73
	s_and_b64 s[42:43], vcc, s[40:41]
	; wave barrier
	s_and_saveexec_b64 s[40:41], s[42:43]
	s_cbranch_execz .LBB15_67
; %bb.66:
	v_bcnt_u32_b32 v4, v4, 0
	v_bcnt_u32_b32 v4, v5, v4
	s_waitcnt lgkmcnt(0)
	v_add_u32_e32 v4, v71, v4
	ds_write_b32 v72, v4 offset:16
.LBB15_67:
	s_or_b64 exec, exec, s[40:41]
	v_lshrrev_b32_e32 v4, s92, v25
	v_and_b32_e32 v5, s94, v4
	v_mul_lo_u32 v4, v5, 20
	v_and_b32_e32 v76, 1, v5
	; wave barrier
	v_lshl_add_u32 v75, v6, 2, v4
	v_add_co_u32_e32 v4, vcc, -1, v76
	v_addc_co_u32_e64 v77, s[40:41], 0, -1, vcc
	v_cmp_ne_u32_e32 vcc, 0, v76
	v_xor_b32_e32 v4, vcc_lo, v4
	v_xor_b32_e32 v76, vcc_hi, v77
	v_and_b32_e32 v77, exec_lo, v4
	v_lshlrev_b32_e32 v4, 30, v5
	v_cmp_gt_i64_e32 vcc, 0, v[3:4]
	v_not_b32_e32 v4, v4
	v_ashrrev_i32_e32 v4, 31, v4
	v_xor_b32_e32 v78, vcc_hi, v4
	v_xor_b32_e32 v4, vcc_lo, v4
	v_and_b32_e32 v77, v77, v4
	v_lshlrev_b32_e32 v4, 29, v5
	v_cmp_gt_i64_e32 vcc, 0, v[3:4]
	v_not_b32_e32 v4, v4
	v_and_b32_e32 v76, exec_hi, v76
	v_ashrrev_i32_e32 v4, 31, v4
	v_and_b32_e32 v76, v76, v78
	v_xor_b32_e32 v78, vcc_hi, v4
	v_xor_b32_e32 v4, vcc_lo, v4
	v_and_b32_e32 v77, v77, v4
	v_lshlrev_b32_e32 v4, 28, v5
	v_cmp_gt_i64_e32 vcc, 0, v[3:4]
	v_not_b32_e32 v4, v4
	v_ashrrev_i32_e32 v4, 31, v4
	v_and_b32_e32 v76, v76, v78
	v_xor_b32_e32 v78, vcc_hi, v4
	v_xor_b32_e32 v4, vcc_lo, v4
	v_and_b32_e32 v77, v77, v4
	v_lshlrev_b32_e32 v4, 27, v5
	v_cmp_gt_i64_e32 vcc, 0, v[3:4]
	v_not_b32_e32 v4, v4
	;; [unrolled: 8-line block ×5, first 2 shown]
	v_ashrrev_i32_e32 v3, 31, v3
	v_xor_b32_e32 v4, vcc_hi, v3
	v_xor_b32_e32 v3, vcc_lo, v3
	ds_read_b32 v74, v75 offset:16
	v_and_b32_e32 v76, v76, v78
	v_and_b32_e32 v3, v77, v3
	;; [unrolled: 1-line block ×3, first 2 shown]
	v_mbcnt_lo_u32_b32 v5, v3, 0
	v_mbcnt_hi_u32_b32 v76, v4, v5
	v_cmp_ne_u64_e32 vcc, 0, v[3:4]
	v_cmp_eq_u32_e64 s[40:41], 0, v76
	s_and_b64 s[42:43], vcc, s[40:41]
	; wave barrier
	s_and_saveexec_b64 s[40:41], s[42:43]
	s_cbranch_execz .LBB15_69
; %bb.68:
	v_bcnt_u32_b32 v3, v3, 0
	v_bcnt_u32_b32 v3, v4, v3
	s_waitcnt lgkmcnt(0)
	v_add_u32_e32 v3, v74, v3
	ds_write_b32 v75, v3 offset:16
.LBB15_69:
	s_or_b64 exec, exec, s[40:41]
	v_lshrrev_b32_e32 v3, s92, v28
	v_and_b32_e32 v5, s94, v3
	v_mul_lo_u32 v3, v5, 20
	v_and_b32_e32 v4, 1, v5
	v_add_co_u32_e32 v79, vcc, -1, v4
	v_addc_co_u32_e64 v80, s[40:41], 0, -1, vcc
	v_cmp_ne_u32_e32 vcc, 0, v4
	v_xor_b32_e32 v4, vcc_hi, v80
	v_lshl_add_u32 v78, v6, 2, v3
	v_mov_b32_e32 v3, 0
	v_and_b32_e32 v80, exec_hi, v4
	v_lshlrev_b32_e32 v4, 30, v5
	v_xor_b32_e32 v79, vcc_lo, v79
	v_cmp_gt_i64_e32 vcc, 0, v[3:4]
	v_not_b32_e32 v4, v4
	v_ashrrev_i32_e32 v4, 31, v4
	v_and_b32_e32 v79, exec_lo, v79
	v_xor_b32_e32 v81, vcc_hi, v4
	v_xor_b32_e32 v4, vcc_lo, v4
	v_and_b32_e32 v79, v79, v4
	v_lshlrev_b32_e32 v4, 29, v5
	v_cmp_gt_i64_e32 vcc, 0, v[3:4]
	v_not_b32_e32 v4, v4
	v_ashrrev_i32_e32 v4, 31, v4
	v_and_b32_e32 v80, v80, v81
	v_xor_b32_e32 v81, vcc_hi, v4
	v_xor_b32_e32 v4, vcc_lo, v4
	v_and_b32_e32 v79, v79, v4
	v_lshlrev_b32_e32 v4, 28, v5
	v_cmp_gt_i64_e32 vcc, 0, v[3:4]
	v_not_b32_e32 v4, v4
	v_ashrrev_i32_e32 v4, 31, v4
	v_and_b32_e32 v80, v80, v81
	;; [unrolled: 8-line block ×5, first 2 shown]
	v_xor_b32_e32 v81, vcc_hi, v4
	v_xor_b32_e32 v4, vcc_lo, v4
	v_and_b32_e32 v79, v79, v4
	v_lshlrev_b32_e32 v4, 24, v5
	v_cmp_gt_i64_e32 vcc, 0, v[3:4]
	v_not_b32_e32 v4, v4
	v_ashrrev_i32_e32 v4, 31, v4
	v_xor_b32_e32 v5, vcc_hi, v4
	v_xor_b32_e32 v4, vcc_lo, v4
	; wave barrier
	ds_read_b32 v77, v78 offset:16
	v_and_b32_e32 v80, v80, v81
	v_and_b32_e32 v4, v79, v4
	;; [unrolled: 1-line block ×3, first 2 shown]
	v_mbcnt_lo_u32_b32 v79, v4, 0
	v_mbcnt_hi_u32_b32 v79, v5, v79
	v_cmp_ne_u64_e32 vcc, 0, v[4:5]
	v_cmp_eq_u32_e64 s[40:41], 0, v79
	s_and_b64 s[42:43], vcc, s[40:41]
	; wave barrier
	s_and_saveexec_b64 s[40:41], s[42:43]
	s_cbranch_execz .LBB15_71
; %bb.70:
	v_bcnt_u32_b32 v4, v4, 0
	v_bcnt_u32_b32 v4, v5, v4
	s_waitcnt lgkmcnt(0)
	v_add_u32_e32 v4, v77, v4
	ds_write_b32 v78, v4 offset:16
.LBB15_71:
	s_or_b64 exec, exec, s[40:41]
	v_lshrrev_b32_e32 v4, s92, v27
	v_and_b32_e32 v5, s94, v4
	v_mul_lo_u32 v4, v5, 20
	v_and_b32_e32 v82, 1, v5
	; wave barrier
	v_lshl_add_u32 v81, v6, 2, v4
	v_add_co_u32_e32 v4, vcc, -1, v82
	v_addc_co_u32_e64 v6, s[40:41], 0, -1, vcc
	v_cmp_ne_u32_e32 vcc, 0, v82
	v_xor_b32_e32 v4, vcc_lo, v4
	v_and_b32_e32 v82, exec_lo, v4
	v_lshlrev_b32_e32 v4, 30, v5
	v_xor_b32_e32 v6, vcc_hi, v6
	v_cmp_gt_i64_e32 vcc, 0, v[3:4]
	v_not_b32_e32 v4, v4
	v_ashrrev_i32_e32 v4, 31, v4
	v_xor_b32_e32 v83, vcc_hi, v4
	v_xor_b32_e32 v4, vcc_lo, v4
	v_and_b32_e32 v82, v82, v4
	v_lshlrev_b32_e32 v4, 29, v5
	v_cmp_gt_i64_e32 vcc, 0, v[3:4]
	v_not_b32_e32 v4, v4
	v_and_b32_e32 v6, exec_hi, v6
	v_ashrrev_i32_e32 v4, 31, v4
	v_and_b32_e32 v6, v6, v83
	v_xor_b32_e32 v83, vcc_hi, v4
	v_xor_b32_e32 v4, vcc_lo, v4
	v_and_b32_e32 v82, v82, v4
	v_lshlrev_b32_e32 v4, 28, v5
	v_cmp_gt_i64_e32 vcc, 0, v[3:4]
	v_not_b32_e32 v4, v4
	v_ashrrev_i32_e32 v4, 31, v4
	v_and_b32_e32 v6, v6, v83
	v_xor_b32_e32 v83, vcc_hi, v4
	v_xor_b32_e32 v4, vcc_lo, v4
	v_and_b32_e32 v82, v82, v4
	v_lshlrev_b32_e32 v4, 27, v5
	v_cmp_gt_i64_e32 vcc, 0, v[3:4]
	v_not_b32_e32 v4, v4
	;; [unrolled: 8-line block ×5, first 2 shown]
	v_ashrrev_i32_e32 v3, 31, v3
	v_xor_b32_e32 v4, vcc_hi, v3
	v_xor_b32_e32 v3, vcc_lo, v3
	ds_read_b32 v80, v81 offset:16
	v_and_b32_e32 v6, v6, v83
	v_and_b32_e32 v3, v82, v3
	;; [unrolled: 1-line block ×3, first 2 shown]
	v_mbcnt_lo_u32_b32 v5, v3, 0
	v_mbcnt_hi_u32_b32 v82, v4, v5
	v_cmp_ne_u64_e32 vcc, 0, v[3:4]
	v_cmp_eq_u32_e64 s[40:41], 0, v82
	s_and_b64 s[42:43], vcc, s[40:41]
	; wave barrier
	s_and_saveexec_b64 s[40:41], s[42:43]
	s_cbranch_execz .LBB15_73
; %bb.72:
	v_bcnt_u32_b32 v3, v3, 0
	v_bcnt_u32_b32 v3, v4, v3
	s_waitcnt lgkmcnt(0)
	v_add_u32_e32 v3, v80, v3
	ds_write_b32 v81, v3 offset:16
.LBB15_73:
	s_or_b64 exec, exec, s[40:41]
	; wave barrier
	s_waitcnt lgkmcnt(0)
	s_barrier
	ds_read2_b32 v[5:6], v29 offset0:4 offset1:5
	ds_read2_b32 v[3:4], v29 offset0:6 offset1:7
	ds_read_b32 v83, v29 offset:32
	v_min_u32_e32 v20, 0xc0, v20
	v_or_b32_e32 v20, 63, v20
	s_waitcnt lgkmcnt(1)
	v_add3_u32 v84, v6, v5, v3
	s_waitcnt lgkmcnt(0)
	v_add3_u32 v83, v84, v4, v83
	v_and_b32_e32 v84, 15, v11
	v_cmp_ne_u32_e32 vcc, 0, v84
	v_mov_b32_dpp v85, v83 row_shr:1 row_mask:0xf bank_mask:0xf
	v_cndmask_b32_e32 v85, 0, v85, vcc
	v_add_u32_e32 v83, v85, v83
	v_cmp_lt_u32_e32 vcc, 1, v84
	s_nop 0
	v_mov_b32_dpp v85, v83 row_shr:2 row_mask:0xf bank_mask:0xf
	v_cndmask_b32_e32 v85, 0, v85, vcc
	v_add_u32_e32 v83, v83, v85
	v_cmp_lt_u32_e32 vcc, 3, v84
	s_nop 0
	;; [unrolled: 5-line block ×3, first 2 shown]
	v_mov_b32_dpp v85, v83 row_shr:8 row_mask:0xf bank_mask:0xf
	v_cndmask_b32_e32 v84, 0, v85, vcc
	v_add_u32_e32 v83, v83, v84
	v_bfe_i32 v85, v11, 4, 1
	v_cmp_lt_u32_e32 vcc, 31, v11
	v_mov_b32_dpp v84, v83 row_bcast:15 row_mask:0xf bank_mask:0xf
	v_and_b32_e32 v84, v85, v84
	v_add_u32_e32 v83, v83, v84
	s_nop 1
	v_mov_b32_dpp v84, v83 row_bcast:31 row_mask:0xf bank_mask:0xf
	v_cndmask_b32_e32 v84, 0, v84, vcc
	v_add_u32_e32 v83, v83, v84
	v_lshrrev_b32_e32 v84, 6, v0
	v_cmp_eq_u32_e32 vcc, v0, v20
	s_and_saveexec_b64 s[40:41], vcc
; %bb.74:
	v_lshlrev_b32_e32 v20, 2, v84
	ds_write_b32 v20, v83
; %bb.75:
	s_or_b64 exec, exec, s[40:41]
	v_cmp_gt_u32_e32 vcc, 4, v0
	s_waitcnt lgkmcnt(0)
	s_barrier
	s_and_saveexec_b64 s[40:41], vcc
	s_cbranch_execz .LBB15_77
; %bb.76:
	v_lshlrev_b32_e32 v20, 2, v0
	ds_read_b32 v85, v20
	v_and_b32_e32 v86, 3, v11
	v_cmp_ne_u32_e32 vcc, 0, v86
	s_waitcnt lgkmcnt(0)
	v_mov_b32_dpp v87, v85 row_shr:1 row_mask:0xf bank_mask:0xf
	v_cndmask_b32_e32 v87, 0, v87, vcc
	v_add_u32_e32 v85, v87, v85
	v_cmp_lt_u32_e32 vcc, 1, v86
	s_nop 0
	v_mov_b32_dpp v87, v85 row_shr:2 row_mask:0xf bank_mask:0xf
	v_cndmask_b32_e32 v86, 0, v87, vcc
	v_add_u32_e32 v85, v85, v86
	ds_write_b32 v20, v85
.LBB15_77:
	s_or_b64 exec, exec, s[40:41]
	v_cmp_lt_u32_e32 vcc, 63, v0
	v_mov_b32_e32 v20, 0
	s_waitcnt lgkmcnt(0)
	s_barrier
	s_and_saveexec_b64 s[40:41], vcc
; %bb.78:
	v_lshl_add_u32 v20, v84, 2, -4
	ds_read_b32 v20, v20
; %bb.79:
	s_or_b64 exec, exec, s[40:41]
	v_add_u32_e32 v84, -1, v11
	v_and_b32_e32 v85, 64, v11
	v_cmp_lt_i32_e32 vcc, v84, v85
	v_cndmask_b32_e32 v84, v84, v11, vcc
	s_waitcnt lgkmcnt(0)
	v_add_u32_e32 v83, v20, v83
	v_lshlrev_b32_e32 v84, 2, v84
	ds_bpermute_b32 v83, v84, v83
	v_cmp_eq_u32_e32 vcc, 0, v11
	s_movk_i32 s40, 0x100
	s_waitcnt lgkmcnt(0)
	v_cndmask_b32_e32 v20, v83, v20, vcc
	v_cmp_ne_u32_e32 vcc, 0, v0
	v_cndmask_b32_e32 v20, 0, v20, vcc
	v_add_u32_e32 v5, v20, v5
	v_add_u32_e32 v6, v5, v6
	;; [unrolled: 1-line block ×4, first 2 shown]
	ds_write2_b32 v29, v20, v5 offset0:4 offset1:5
	ds_write2_b32 v29, v6, v3 offset0:6 offset1:7
	ds_write_b32 v29, v4 offset:32
	s_waitcnt lgkmcnt(0)
	s_barrier
	ds_read_b32 v4, v51 offset:16
	ds_read_b32 v5, v54 offset:16
	;; [unrolled: 1-line block ×19, first 2 shown]
	v_add_u32_e32 v29, 1, v0
	v_cmp_ne_u32_e32 vcc, s40, v29
	v_mov_b32_e32 v3, 0x1200
	s_and_saveexec_b64 s[40:41], vcc
; %bb.80:
	v_mul_u32_u24_e32 v3, 20, v29
	ds_read_b32 v3, v3 offset:16
; %bb.81:
	s_or_b64 exec, exec, s[40:41]
	s_waitcnt lgkmcnt(7)
	v_add_u32_e32 v54, v31, v30
	s_waitcnt lgkmcnt(6)
	v_add3_u32 v51, v34, v32, v33
	s_waitcnt lgkmcnt(4)
	v_add3_u32 v45, v40, v38, v39
	v_add3_u32 v39, v52, v50, v4
	v_lshlrev_b32_e32 v4, 2, v54
	v_add3_u32 v48, v37, v35, v36
	s_waitcnt lgkmcnt(0)
	s_barrier
	ds_write_b32 v4, v8 offset:2048
	v_lshlrev_b32_e32 v4, 2, v51
	ds_write_b32 v4, v7 offset:2048
	v_lshlrev_b32_e32 v4, 2, v48
	v_add3_u32 v42, v43, v41, v42
	ds_write_b32 v4, v13 offset:2048
	v_lshlrev_b32_e32 v4, 2, v45
	v_add3_u32 v41, v46, v44, v81
	ds_write_b32 v4, v12 offset:2048
	v_lshlrev_b32_e32 v4, 2, v42
	v_add3_u32 v40, v49, v47, v83
	ds_write_b32 v4, v15 offset:2048
	v_lshlrev_b32_e32 v4, 2, v41
	ds_write_b32 v4, v14 offset:2048
	v_lshlrev_b32_e32 v4, 2, v40
	v_add3_u32 v38, v55, v53, v5
	ds_write_b32 v4, v17 offset:2048
	v_lshlrev_b32_e32 v4, 2, v39
	v_add3_u32 v37, v58, v56, v6
	ds_write_b32 v4, v16 offset:2048
	v_lshlrev_b32_e32 v4, 2, v38
	v_add3_u32 v36, v61, v59, v57
	ds_write_b32 v4, v19 offset:2048
	v_lshlrev_b32_e32 v4, 2, v37
	v_add3_u32 v35, v64, v62, v60
	ds_write_b32 v4, v18 offset:2048
	v_lshlrev_b32_e32 v4, 2, v36
	v_add3_u32 v34, v67, v65, v63
	ds_write_b32 v4, v22 offset:2048
	v_lshlrev_b32_e32 v4, 2, v35
	v_add3_u32 v33, v70, v68, v66
	ds_write_b32 v4, v21 offset:2048
	v_lshlrev_b32_e32 v4, 2, v34
	v_add3_u32 v32, v73, v71, v69
	ds_write_b32 v4, v24 offset:2048
	v_lshlrev_b32_e32 v4, 2, v33
	v_add3_u32 v31, v76, v74, v72
	ds_write_b32 v4, v23 offset:2048
	v_lshlrev_b32_e32 v4, 2, v32
	v_add3_u32 v30, v79, v77, v75
	ds_write_b32 v4, v26 offset:2048
	v_lshlrev_b32_e32 v4, 2, v31
	v_add3_u32 v29, v82, v80, v78
	ds_write_b32 v4, v25 offset:2048
	v_lshlrev_b32_e32 v4, 2, v30
	ds_write_b32 v4, v28 offset:2048
	v_lshlrev_b32_e32 v4, 2, v29
	ds_write_b32 v4, v27 offset:2048
	v_sub_u32_e32 v12, v3, v20
	v_lshl_or_b32 v3, s6, 8, v0
	v_mov_b32_e32 v4, 0
	v_lshlrev_b64 v[5:6], 2, v[3:4]
	v_mov_b32_e32 v13, s89
	v_add_co_u32_e32 v5, vcc, s88, v5
	v_addc_co_u32_e32 v6, vcc, v13, v6, vcc
	v_or_b32_e32 v3, 2.0, v12
	s_mov_b64 s[40:41], 0
	s_brev_b32 s46, -4
	s_mov_b32 s47, s7
	v_mov_b32_e32 v14, 0
	s_waitcnt lgkmcnt(0)
	s_barrier
	global_store_dword v[5:6], v3, off
                                        ; implicit-def: $sgpr42_sgpr43
	s_branch .LBB15_84
.LBB15_82:                              ;   in Loop: Header=BB15_84 Depth=1
	s_or_b64 exec, exec, s[44:45]
.LBB15_83:                              ;   in Loop: Header=BB15_84 Depth=1
	s_or_b64 exec, exec, s[42:43]
	v_and_b32_e32 v7, 0x3fffffff, v3
	v_add_u32_e32 v14, v7, v14
	v_cmp_gt_i32_e64 s[42:43], -2.0, v3
	s_and_b64 s[44:45], exec, s[42:43]
	s_or_b64 s[40:41], s[44:45], s[40:41]
	s_andn2_b64 exec, exec, s[40:41]
	s_cbranch_execz .LBB15_89
.LBB15_84:                              ; =>This Loop Header: Depth=1
                                        ;     Child Loop BB15_87 Depth 2
	s_or_b64 s[42:43], s[42:43], exec
	s_cmp_eq_u32 s47, 0
	s_cbranch_scc1 .LBB15_88
; %bb.85:                               ;   in Loop: Header=BB15_84 Depth=1
	s_add_i32 s47, s47, -1
	v_lshl_or_b32 v3, s47, 8, v0
	v_lshlrev_b64 v[7:8], 2, v[3:4]
	v_add_co_u32_e32 v7, vcc, s88, v7
	v_addc_co_u32_e32 v8, vcc, v13, v8, vcc
	global_load_dword v3, v[7:8], off glc
	s_waitcnt vmcnt(0)
	v_cmp_gt_u32_e32 vcc, 2.0, v3
	s_and_saveexec_b64 s[42:43], vcc
	s_cbranch_execz .LBB15_83
; %bb.86:                               ;   in Loop: Header=BB15_84 Depth=1
	s_mov_b64 s[44:45], 0
.LBB15_87:                              ;   Parent Loop BB15_84 Depth=1
                                        ; =>  This Inner Loop Header: Depth=2
	global_load_dword v3, v[7:8], off glc
	s_waitcnt vmcnt(0)
	v_cmp_lt_u32_e32 vcc, s46, v3
	s_or_b64 s[44:45], vcc, s[44:45]
	s_andn2_b64 exec, exec, s[44:45]
	s_cbranch_execnz .LBB15_87
	s_branch .LBB15_82
.LBB15_88:                              ;   in Loop: Header=BB15_84 Depth=1
                                        ; implicit-def: $sgpr47
	s_and_b64 s[44:45], exec, s[42:43]
	s_or_b64 s[40:41], s[44:45], s[40:41]
	s_andn2_b64 exec, exec, s[40:41]
	s_cbranch_execnz .LBB15_84
.LBB15_89:
	s_or_b64 exec, exec, s[40:41]
	s_load_dwordx4 s[40:43], s[4:5], 0x28
	v_add_u32_e32 v3, v14, v12
	v_or_b32_e32 v3, 0x80000000, v3
	v_lshlrev_b32_e32 v7, 3, v0
	global_store_dword v[5:6], v3, off
	s_waitcnt lgkmcnt(0)
	global_load_dwordx2 v[3:4], v7, s[40:41]
	v_sub_co_u32_e32 v5, vcc, v14, v20
	v_subb_co_u32_e64 v6, s[40:41], 0, 0, vcc
	s_waitcnt vmcnt(0)
	v_add_co_u32_e32 v3, vcc, v5, v3
	v_addc_co_u32_e32 v4, vcc, v6, v4, vcc
	v_cmp_gt_u32_e32 vcc, s90, v0
	ds_write_b64 v7, v[3:4]
	s_waitcnt lgkmcnt(0)
	s_barrier
	s_and_saveexec_b64 s[42:43], vcc
	s_cbranch_execz .LBB15_91
; %bb.90:
	v_lshlrev_b32_e32 v5, 2, v0
	v_sub_u32_e32 v3, v7, v5
	ds_read_b32 v6, v3 offset:2048
	v_mov_b32_e32 v8, s83
	s_waitcnt lgkmcnt(0)
	v_lshrrev_b32_e32 v3, s92, v6
	v_and_b32_e32 v3, s94, v3
	v_lshlrev_b32_e32 v3, 3, v3
	ds_read_b64 v[3:4], v3
	v_xor_b32_e32 v6, 0x7fffffff, v6
	s_waitcnt lgkmcnt(0)
	v_lshlrev_b64 v[3:4], 2, v[3:4]
	v_add_co_u32_e64 v3, s[40:41], s82, v3
	v_addc_co_u32_e64 v4, s[40:41], v8, v4, s[40:41]
	v_add_co_u32_e64 v3, s[40:41], v3, v5
	v_addc_co_u32_e64 v4, s[40:41], 0, v4, s[40:41]
	global_store_dword v[3:4], v6, off
.LBB15_91:
	s_or_b64 exec, exec, s[42:43]
	v_or_b32_e32 v3, 0x100, v0
	v_cmp_gt_u32_e64 s[40:41], s90, v3
	s_and_saveexec_b64 s[44:45], s[40:41]
	s_cbranch_execz .LBB15_93
; %bb.92:
	v_lshlrev_b32_e32 v5, 2, v0
	v_sub_u32_e32 v3, v7, v5
	ds_read_b32 v6, v3 offset:3072
	v_mov_b32_e32 v8, s83
	s_waitcnt lgkmcnt(0)
	v_lshrrev_b32_e32 v3, s92, v6
	v_and_b32_e32 v3, s94, v3
	v_lshlrev_b32_e32 v3, 3, v3
	ds_read_b64 v[3:4], v3
	v_xor_b32_e32 v6, 0x7fffffff, v6
	s_waitcnt lgkmcnt(0)
	v_lshlrev_b64 v[3:4], 2, v[3:4]
	v_add_co_u32_e64 v3, s[42:43], s82, v3
	v_addc_co_u32_e64 v4, s[42:43], v8, v4, s[42:43]
	v_add_co_u32_e64 v3, s[42:43], v3, v5
	v_addc_co_u32_e64 v4, s[42:43], 0, v4, s[42:43]
	global_store_dword v[3:4], v6, off offset:1024
.LBB15_93:
	s_or_b64 exec, exec, s[44:45]
	v_or_b32_e32 v3, 0x200, v0
	v_cmp_gt_u32_e64 s[42:43], s90, v3
	s_and_saveexec_b64 s[46:47], s[42:43]
	s_cbranch_execz .LBB15_95
; %bb.94:
	v_lshlrev_b32_e32 v5, 2, v0
	v_sub_u32_e32 v3, v7, v5
	ds_read_b32 v6, v3 offset:4096
	v_mov_b32_e32 v8, s83
	s_waitcnt lgkmcnt(0)
	v_lshrrev_b32_e32 v3, s92, v6
	v_and_b32_e32 v3, s94, v3
	v_lshlrev_b32_e32 v3, 3, v3
	ds_read_b64 v[3:4], v3
	v_xor_b32_e32 v6, 0x7fffffff, v6
	s_waitcnt lgkmcnt(0)
	v_lshlrev_b64 v[3:4], 2, v[3:4]
	v_add_co_u32_e64 v3, s[44:45], s82, v3
	v_addc_co_u32_e64 v4, s[44:45], v8, v4, s[44:45]
	v_add_co_u32_e64 v3, s[44:45], v3, v5
	v_addc_co_u32_e64 v4, s[44:45], 0, v4, s[44:45]
	global_store_dword v[3:4], v6, off offset:2048
.LBB15_95:
	;; [unrolled: 24-line block ×3, first 2 shown]
	s_or_b64 exec, exec, s[48:49]
	v_or_b32_e32 v3, 0x400, v0
	v_cmp_gt_u32_e64 s[46:47], s90, v3
	s_and_saveexec_b64 s[50:51], s[46:47]
	s_cbranch_execz .LBB15_99
; %bb.98:
	v_lshlrev_b32_e32 v4, 2, v0
	v_sub_u32_e32 v4, v7, v4
	ds_read_b32 v6, v4 offset:6144
	v_lshlrev_b32_e32 v13, 2, v3
	v_mov_b32_e32 v8, s83
	s_waitcnt lgkmcnt(0)
	v_lshrrev_b32_e32 v4, s92, v6
	v_and_b32_e32 v4, s94, v4
	v_lshlrev_b32_e32 v4, 3, v4
	ds_read_b64 v[4:5], v4
	v_xor_b32_e32 v6, 0x7fffffff, v6
	s_waitcnt lgkmcnt(0)
	v_lshlrev_b64 v[3:4], 2, v[4:5]
	v_add_co_u32_e64 v3, s[48:49], s82, v3
	v_addc_co_u32_e64 v4, s[48:49], v8, v4, s[48:49]
	v_add_co_u32_e64 v3, s[48:49], v3, v13
	v_addc_co_u32_e64 v4, s[48:49], 0, v4, s[48:49]
	global_store_dword v[3:4], v6, off
.LBB15_99:
	s_or_b64 exec, exec, s[50:51]
	v_or_b32_e32 v3, 0x500, v0
	v_cmp_gt_u32_e64 s[48:49], s90, v3
	s_and_saveexec_b64 s[52:53], s[48:49]
	s_cbranch_execz .LBB15_101
; %bb.100:
	v_lshlrev_b32_e32 v4, 2, v0
	v_sub_u32_e32 v4, v7, v4
	ds_read_b32 v6, v4 offset:7168
	v_lshlrev_b32_e32 v13, 2, v3
	v_mov_b32_e32 v8, s83
	s_waitcnt lgkmcnt(0)
	v_lshrrev_b32_e32 v4, s92, v6
	v_and_b32_e32 v4, s94, v4
	v_lshlrev_b32_e32 v4, 3, v4
	ds_read_b64 v[4:5], v4
	v_xor_b32_e32 v6, 0x7fffffff, v6
	s_waitcnt lgkmcnt(0)
	v_lshlrev_b64 v[3:4], 2, v[4:5]
	v_add_co_u32_e64 v3, s[50:51], s82, v3
	v_addc_co_u32_e64 v4, s[50:51], v8, v4, s[50:51]
	v_add_co_u32_e64 v3, s[50:51], v3, v13
	v_addc_co_u32_e64 v4, s[50:51], 0, v4, s[50:51]
	global_store_dword v[3:4], v6, off
.LBB15_101:
	;; [unrolled: 25-line block ×3, first 2 shown]
	s_or_b64 exec, exec, s[54:55]
	v_or_b32_e32 v3, 0x700, v0
	v_cmp_gt_u32_e64 s[52:53], s90, v3
	s_and_saveexec_b64 s[56:57], s[52:53]
	s_cbranch_execz .LBB15_105
; %bb.104:
	v_lshlrev_b32_e32 v4, 2, v0
	ds_read_b32 v6, v4 offset:9216
	v_lshlrev_b32_e32 v13, 2, v3
	v_mov_b32_e32 v8, s83
	s_waitcnt lgkmcnt(0)
	v_lshrrev_b32_e32 v4, s92, v6
	v_and_b32_e32 v4, s94, v4
	v_lshlrev_b32_e32 v4, 3, v4
	ds_read_b64 v[4:5], v4
	v_xor_b32_e32 v6, 0x7fffffff, v6
	s_waitcnt lgkmcnt(0)
	v_lshlrev_b64 v[3:4], 2, v[4:5]
	v_add_co_u32_e64 v3, s[54:55], s82, v3
	v_addc_co_u32_e64 v4, s[54:55], v8, v4, s[54:55]
	v_add_co_u32_e64 v3, s[54:55], v3, v13
	v_addc_co_u32_e64 v4, s[54:55], 0, v4, s[54:55]
	global_store_dword v[3:4], v6, off
.LBB15_105:
	s_or_b64 exec, exec, s[56:57]
	v_or_b32_e32 v5, 0x800, v0
	v_cmp_gt_u32_e64 s[54:55], s90, v5
	s_and_saveexec_b64 s[58:59], s[54:55]
	s_cbranch_execz .LBB15_107
; %bb.106:
	v_lshlrev_b32_e32 v3, 2, v0
	ds_read_b32 v6, v3 offset:10240
	v_mov_b32_e32 v8, s83
	v_lshlrev_b32_e32 v13, 2, v5
	s_waitcnt lgkmcnt(0)
	v_lshrrev_b32_e32 v3, s92, v6
	v_and_b32_e32 v3, s94, v3
	v_lshlrev_b32_e32 v3, 3, v3
	ds_read_b64 v[3:4], v3
	v_xor_b32_e32 v6, 0x7fffffff, v6
	s_waitcnt lgkmcnt(0)
	v_lshlrev_b64 v[3:4], 2, v[3:4]
	v_add_co_u32_e64 v3, s[56:57], s82, v3
	v_addc_co_u32_e64 v4, s[56:57], v8, v4, s[56:57]
	v_add_co_u32_e64 v3, s[56:57], v3, v13
	v_addc_co_u32_e64 v4, s[56:57], 0, v4, s[56:57]
	global_store_dword v[3:4], v6, off
.LBB15_107:
	s_or_b64 exec, exec, s[58:59]
	v_or_b32_e32 v6, 0x900, v0
	v_cmp_gt_u32_e64 s[56:57], s90, v6
	s_and_saveexec_b64 s[60:61], s[56:57]
	s_cbranch_execz .LBB15_109
; %bb.108:
	v_lshlrev_b32_e32 v3, 2, v0
	ds_read_b32 v8, v3 offset:11264
	v_mov_b32_e32 v13, s83
	v_lshlrev_b32_e32 v14, 2, v6
	s_waitcnt lgkmcnt(0)
	v_lshrrev_b32_e32 v3, s92, v8
	v_and_b32_e32 v3, s94, v3
	v_lshlrev_b32_e32 v3, 3, v3
	ds_read_b64 v[3:4], v3
	v_xor_b32_e32 v8, 0x7fffffff, v8
	s_waitcnt lgkmcnt(0)
	v_lshlrev_b64 v[3:4], 2, v[3:4]
	v_add_co_u32_e64 v3, s[58:59], s82, v3
	v_addc_co_u32_e64 v4, s[58:59], v13, v4, s[58:59]
	v_add_co_u32_e64 v3, s[58:59], v3, v14
	v_addc_co_u32_e64 v4, s[58:59], 0, v4, s[58:59]
	global_store_dword v[3:4], v8, off
.LBB15_109:
	;; [unrolled: 24-line block ×10, first 2 shown]
	s_or_b64 exec, exec, s[90:91]
	s_lshl_b64 s[76:77], s[78:79], 1
	s_add_u32 s76, s84, s76
	s_addc_u32 s77, s85, s77
	v_lshlrev_b32_e32 v3, 1, v11
	v_mov_b32_e32 v4, s77
	v_add_co_u32_e64 v3, s[76:77], s76, v3
	v_addc_co_u32_e64 v4, s[76:77], 0, v4, s[76:77]
	v_lshlrev_b32_e32 v10, 1, v10
	v_add_co_u32_e64 v3, s[76:77], v3, v10
	v_addc_co_u32_e64 v4, s[76:77], 0, v4, s[76:77]
                                        ; implicit-def: $vgpr10
	s_and_saveexec_b64 s[76:77], s[0:1]
	s_xor_b64 s[0:1], exec, s[76:77]
	s_cbranch_execz .LBB15_143
; %bb.126:
	global_load_ushort v10, v[3:4], off
	s_or_b64 exec, exec, s[0:1]
                                        ; implicit-def: $vgpr11
	s_and_saveexec_b64 s[0:1], s[2:3]
	s_cbranch_execnz .LBB15_144
.LBB15_127:
	s_or_b64 exec, exec, s[0:1]
                                        ; implicit-def: $vgpr22
	s_and_saveexec_b64 s[0:1], s[74:75]
	s_cbranch_execz .LBB15_145
.LBB15_128:
	global_load_ushort v22, v[3:4], off offset:256
	s_or_b64 exec, exec, s[0:1]
                                        ; implicit-def: $vgpr24
	s_and_saveexec_b64 s[0:1], s[8:9]
	s_cbranch_execnz .LBB15_146
.LBB15_129:
	s_or_b64 exec, exec, s[0:1]
                                        ; implicit-def: $vgpr26
	s_and_saveexec_b64 s[0:1], s[10:11]
	s_cbranch_execz .LBB15_147
.LBB15_130:
	global_load_ushort v26, v[3:4], off offset:512
	s_or_b64 exec, exec, s[0:1]
                                        ; implicit-def: $vgpr27
	s_and_saveexec_b64 s[0:1], s[12:13]
	s_cbranch_execnz .LBB15_148
.LBB15_131:
	s_or_b64 exec, exec, s[0:1]
                                        ; implicit-def: $vgpr44
	s_and_saveexec_b64 s[0:1], s[14:15]
	s_cbranch_execz .LBB15_149
.LBB15_132:
	global_load_ushort v44, v[3:4], off offset:768
	s_or_b64 exec, exec, s[0:1]
                                        ; implicit-def: $vgpr46
	s_and_saveexec_b64 s[0:1], s[16:17]
	s_cbranch_execnz .LBB15_150
.LBB15_133:
	s_or_b64 exec, exec, s[0:1]
                                        ; implicit-def: $vgpr50
	s_and_saveexec_b64 s[0:1], s[18:19]
	s_cbranch_execz .LBB15_151
.LBB15_134:
	global_load_ushort v50, v[3:4], off offset:1024
	s_or_b64 exec, exec, s[0:1]
                                        ; implicit-def: $vgpr52
	s_and_saveexec_b64 s[0:1], s[20:21]
	s_cbranch_execnz .LBB15_152
.LBB15_135:
	s_or_b64 exec, exec, s[0:1]
                                        ; implicit-def: $vgpr56
	s_and_saveexec_b64 s[0:1], s[22:23]
	s_cbranch_execz .LBB15_153
.LBB15_136:
	global_load_ushort v56, v[3:4], off offset:1280
	s_or_b64 exec, exec, s[0:1]
                                        ; implicit-def: $vgpr57
	s_and_saveexec_b64 s[0:1], s[24:25]
	s_cbranch_execnz .LBB15_154
.LBB15_137:
	s_or_b64 exec, exec, s[0:1]
                                        ; implicit-def: $vgpr60
	s_and_saveexec_b64 s[0:1], s[26:27]
	s_cbranch_execz .LBB15_155
.LBB15_138:
	global_load_ushort v60, v[3:4], off offset:1536
	s_or_b64 exec, exec, s[0:1]
                                        ; implicit-def: $vgpr62
	s_and_saveexec_b64 s[0:1], s[28:29]
	s_cbranch_execnz .LBB15_156
.LBB15_139:
	s_or_b64 exec, exec, s[0:1]
                                        ; implicit-def: $vgpr64
	s_and_saveexec_b64 s[0:1], s[30:31]
	s_cbranch_execz .LBB15_157
.LBB15_140:
	global_load_ushort v64, v[3:4], off offset:1792
	s_or_b64 exec, exec, s[0:1]
                                        ; implicit-def: $vgpr66
	s_and_saveexec_b64 s[0:1], s[34:35]
	s_cbranch_execnz .LBB15_158
.LBB15_141:
	s_or_b64 exec, exec, s[0:1]
                                        ; implicit-def: $vgpr68
	s_and_saveexec_b64 s[0:1], s[36:37]
	s_cbranch_execz .LBB15_159
.LBB15_142:
	global_load_ushort v68, v[3:4], off offset:2048
	s_or_b64 exec, exec, s[0:1]
                                        ; implicit-def: $vgpr69
	s_and_saveexec_b64 s[0:1], s[38:39]
	s_cbranch_execnz .LBB15_160
	s_branch .LBB15_161
.LBB15_143:
	s_or_b64 exec, exec, s[0:1]
                                        ; implicit-def: $vgpr11
	s_and_saveexec_b64 s[0:1], s[2:3]
	s_cbranch_execz .LBB15_127
.LBB15_144:
	global_load_ushort v11, v[3:4], off offset:128
	s_or_b64 exec, exec, s[0:1]
                                        ; implicit-def: $vgpr22
	s_and_saveexec_b64 s[0:1], s[74:75]
	s_cbranch_execnz .LBB15_128
.LBB15_145:
	s_or_b64 exec, exec, s[0:1]
                                        ; implicit-def: $vgpr24
	s_and_saveexec_b64 s[0:1], s[8:9]
	s_cbranch_execz .LBB15_129
.LBB15_146:
	global_load_ushort v24, v[3:4], off offset:384
	s_or_b64 exec, exec, s[0:1]
                                        ; implicit-def: $vgpr26
	s_and_saveexec_b64 s[0:1], s[10:11]
	s_cbranch_execnz .LBB15_130
.LBB15_147:
	s_or_b64 exec, exec, s[0:1]
                                        ; implicit-def: $vgpr27
	s_and_saveexec_b64 s[0:1], s[12:13]
	s_cbranch_execz .LBB15_131
.LBB15_148:
	global_load_ushort v27, v[3:4], off offset:640
	s_or_b64 exec, exec, s[0:1]
                                        ; implicit-def: $vgpr44
	s_and_saveexec_b64 s[0:1], s[14:15]
	s_cbranch_execnz .LBB15_132
.LBB15_149:
	s_or_b64 exec, exec, s[0:1]
                                        ; implicit-def: $vgpr46
	s_and_saveexec_b64 s[0:1], s[16:17]
	s_cbranch_execz .LBB15_133
.LBB15_150:
	global_load_ushort v46, v[3:4], off offset:896
	s_or_b64 exec, exec, s[0:1]
                                        ; implicit-def: $vgpr50
	s_and_saveexec_b64 s[0:1], s[18:19]
	s_cbranch_execnz .LBB15_134
.LBB15_151:
	s_or_b64 exec, exec, s[0:1]
                                        ; implicit-def: $vgpr52
	s_and_saveexec_b64 s[0:1], s[20:21]
	s_cbranch_execz .LBB15_135
.LBB15_152:
	global_load_ushort v52, v[3:4], off offset:1152
	s_or_b64 exec, exec, s[0:1]
                                        ; implicit-def: $vgpr56
	s_and_saveexec_b64 s[0:1], s[22:23]
	s_cbranch_execnz .LBB15_136
.LBB15_153:
	s_or_b64 exec, exec, s[0:1]
                                        ; implicit-def: $vgpr57
	s_and_saveexec_b64 s[0:1], s[24:25]
	s_cbranch_execz .LBB15_137
.LBB15_154:
	global_load_ushort v57, v[3:4], off offset:1408
	s_or_b64 exec, exec, s[0:1]
                                        ; implicit-def: $vgpr60
	s_and_saveexec_b64 s[0:1], s[26:27]
	s_cbranch_execnz .LBB15_138
.LBB15_155:
	s_or_b64 exec, exec, s[0:1]
                                        ; implicit-def: $vgpr62
	s_and_saveexec_b64 s[0:1], s[28:29]
	s_cbranch_execz .LBB15_139
.LBB15_156:
	global_load_ushort v62, v[3:4], off offset:1664
	s_or_b64 exec, exec, s[0:1]
                                        ; implicit-def: $vgpr64
	s_and_saveexec_b64 s[0:1], s[30:31]
	s_cbranch_execnz .LBB15_140
.LBB15_157:
	s_or_b64 exec, exec, s[0:1]
                                        ; implicit-def: $vgpr66
	s_and_saveexec_b64 s[0:1], s[34:35]
	s_cbranch_execz .LBB15_141
.LBB15_158:
	global_load_ushort v66, v[3:4], off offset:1920
	s_or_b64 exec, exec, s[0:1]
                                        ; implicit-def: $vgpr68
	s_and_saveexec_b64 s[0:1], s[36:37]
	s_cbranch_execnz .LBB15_142
.LBB15_159:
	s_or_b64 exec, exec, s[0:1]
                                        ; implicit-def: $vgpr69
	s_and_saveexec_b64 s[0:1], s[38:39]
	s_cbranch_execz .LBB15_161
.LBB15_160:
	global_load_ushort v69, v[3:4], off offset:2176
.LBB15_161:
	s_or_b64 exec, exec, s[0:1]
	v_mov_b32_e32 v65, 0
	v_mov_b32_e32 v70, 0
	s_and_saveexec_b64 s[0:1], vcc
	s_cbranch_execz .LBB15_163
; %bb.162:
	v_lshlrev_b32_e32 v3, 2, v0
	ds_read_b32 v3, v3 offset:2048
	s_waitcnt lgkmcnt(0)
	v_lshrrev_b32_e32 v3, s92, v3
	v_and_b32_e32 v70, s94, v3
.LBB15_163:
	s_or_b64 exec, exec, s[0:1]
	s_and_saveexec_b64 s[0:1], s[40:41]
	s_cbranch_execz .LBB15_165
; %bb.164:
	v_lshlrev_b32_e32 v3, 2, v0
	ds_read_b32 v3, v3 offset:3072
	s_waitcnt lgkmcnt(0)
	v_lshrrev_b32_e32 v3, s92, v3
	v_and_b32_e32 v65, s94, v3
.LBB15_165:
	s_or_b64 exec, exec, s[0:1]
	v_mov_b32_e32 v61, 0
	v_mov_b32_e32 v67, 0
	s_and_saveexec_b64 s[0:1], s[42:43]
	s_cbranch_execz .LBB15_167
; %bb.166:
	v_lshlrev_b32_e32 v3, 2, v0
	ds_read_b32 v3, v3 offset:4096
	s_waitcnt lgkmcnt(0)
	v_lshrrev_b32_e32 v3, s92, v3
	v_and_b32_e32 v67, s94, v3
.LBB15_167:
	s_or_b64 exec, exec, s[0:1]
	s_and_saveexec_b64 s[0:1], s[44:45]
	s_cbranch_execz .LBB15_169
; %bb.168:
	v_lshlrev_b32_e32 v3, 2, v0
	ds_read_b32 v3, v3 offset:5120
	s_waitcnt lgkmcnt(0)
	v_lshrrev_b32_e32 v3, s92, v3
	v_and_b32_e32 v61, s94, v3
.LBB15_169:
	s_or_b64 exec, exec, s[0:1]
	v_mov_b32_e32 v58, 0
	v_mov_b32_e32 v63, 0
	s_and_saveexec_b64 s[0:1], s[46:47]
	;; [unrolled: 22-line block ×8, first 2 shown]
	s_cbranch_execz .LBB15_195
; %bb.194:
	v_lshlrev_b32_e32 v21, 2, v0
	ds_read_b32 v21, v21 offset:18432
	s_waitcnt lgkmcnt(0)
	v_lshrrev_b32_e32 v21, s92, v21
	v_and_b32_e32 v21, s94, v21
.LBB15_195:
	s_or_b64 exec, exec, s[0:1]
	s_and_saveexec_b64 s[0:1], s[72:73]
	s_cbranch_execz .LBB15_197
; %bb.196:
	v_lshlrev_b32_e32 v3, 2, v0
	ds_read_b32 v3, v3 offset:19456
	s_waitcnt lgkmcnt(0)
	v_lshrrev_b32_e32 v3, s92, v3
	v_and_b32_e32 v3, s94, v3
.LBB15_197:
	s_or_b64 exec, exec, s[0:1]
	v_lshlrev_b32_e32 v54, 1, v54
	s_waitcnt vmcnt(0)
	s_barrier
	ds_write_b16 v54, v10 offset:2048
	v_lshlrev_b32_e32 v10, 1, v51
	ds_write_b16 v10, v11 offset:2048
	v_lshlrev_b32_e32 v10, 1, v48
	;; [unrolled: 2-line block ×17, first 2 shown]
	ds_write_b16 v10, v69 offset:2048
	s_waitcnt lgkmcnt(0)
	s_barrier
	s_and_saveexec_b64 s[0:1], vcc
	s_cbranch_execz .LBB15_274
; %bb.198:
	v_lshlrev_b32_e32 v10, 3, v70
	ds_read_b64 v[10:11], v10
	v_lshlrev_b32_e32 v22, 1, v0
	ds_read_u16 v24, v22 offset:2048
	v_mov_b32_e32 v26, s87
	s_waitcnt lgkmcnt(1)
	v_lshlrev_b64 v[10:11], 1, v[10:11]
	v_add_co_u32_e32 v10, vcc, s86, v10
	v_addc_co_u32_e32 v11, vcc, v26, v11, vcc
	v_add_co_u32_e32 v10, vcc, v10, v22
	v_addc_co_u32_e32 v11, vcc, 0, v11, vcc
	s_waitcnt lgkmcnt(0)
	global_store_short v[10:11], v24, off
	s_or_b64 exec, exec, s[0:1]
	s_and_saveexec_b64 s[0:1], s[40:41]
	s_cbranch_execnz .LBB15_275
.LBB15_199:
	s_or_b64 exec, exec, s[0:1]
	s_and_saveexec_b64 s[0:1], s[42:43]
	s_cbranch_execz .LBB15_276
.LBB15_200:
	v_lshlrev_b32_e32 v10, 3, v67
	ds_read_b64 v[10:11], v10
	v_lshlrev_b32_e32 v22, 1, v0
	ds_read_u16 v24, v22 offset:3072
	v_mov_b32_e32 v26, s87
	s_waitcnt lgkmcnt(1)
	v_lshlrev_b64 v[10:11], 1, v[10:11]
	v_add_co_u32_e32 v10, vcc, s86, v10
	v_addc_co_u32_e32 v11, vcc, v26, v11, vcc
	v_add_co_u32_e32 v10, vcc, v10, v22
	v_addc_co_u32_e32 v11, vcc, 0, v11, vcc
	s_waitcnt lgkmcnt(0)
	global_store_short v[10:11], v24, off offset:1024
	s_or_b64 exec, exec, s[0:1]
	s_and_saveexec_b64 s[0:1], s[44:45]
	s_cbranch_execnz .LBB15_277
.LBB15_201:
	s_or_b64 exec, exec, s[0:1]
	s_and_saveexec_b64 s[0:1], s[46:47]
	s_cbranch_execz .LBB15_278
.LBB15_202:
	v_lshlrev_b32_e32 v10, 3, v63
	ds_read_b64 v[10:11], v10
	v_lshlrev_b32_e32 v22, 1, v0
	ds_read_u16 v24, v22 offset:4096
	v_mov_b32_e32 v26, s87
	s_waitcnt lgkmcnt(1)
	v_lshlrev_b64 v[10:11], 1, v[10:11]
	v_add_co_u32_e32 v10, vcc, s86, v10
	v_addc_co_u32_e32 v11, vcc, v26, v11, vcc
	v_add_co_u32_e32 v10, vcc, v10, v22
	v_addc_co_u32_e32 v11, vcc, 0, v11, vcc
	s_waitcnt lgkmcnt(0)
	global_store_short v[10:11], v24, off offset:2048
	s_or_b64 exec, exec, s[0:1]
	s_and_saveexec_b64 s[0:1], s[48:49]
	s_cbranch_execnz .LBB15_279
.LBB15_203:
	s_or_b64 exec, exec, s[0:1]
	s_and_saveexec_b64 s[0:1], s[50:51]
	s_cbranch_execz .LBB15_280
.LBB15_204:
	v_lshlrev_b32_e32 v10, 3, v59
	ds_read_b64 v[10:11], v10
	v_lshlrev_b32_e32 v22, 1, v0
	ds_read_u16 v24, v22 offset:5120
	v_mov_b32_e32 v26, s87
	s_waitcnt lgkmcnt(1)
	v_lshlrev_b64 v[10:11], 1, v[10:11]
	v_add_co_u32_e32 v10, vcc, s86, v10
	v_addc_co_u32_e32 v11, vcc, v26, v11, vcc
	v_add_co_u32_e32 v10, vcc, v10, v22
	v_addc_co_u32_e32 v11, vcc, 0, v11, vcc
	s_waitcnt lgkmcnt(0)
	global_store_short v[10:11], v24, off offset:3072
	s_or_b64 exec, exec, s[0:1]
	s_and_saveexec_b64 s[0:1], s[52:53]
	s_cbranch_execnz .LBB15_281
.LBB15_205:
	s_or_b64 exec, exec, s[0:1]
	s_and_saveexec_b64 s[0:1], s[54:55]
	s_cbranch_execz .LBB15_282
.LBB15_206:
	v_lshlrev_b32_e32 v10, 3, v55
	ds_read_b64 v[10:11], v10
	v_lshlrev_b32_e32 v22, 1, v0
	ds_read_u16 v22, v22 offset:6144
	v_mov_b32_e32 v24, s87
	v_lshlrev_b32_e32 v5, 1, v5
	s_waitcnt lgkmcnt(1)
	v_lshlrev_b64 v[10:11], 1, v[10:11]
	v_add_co_u32_e32 v10, vcc, s86, v10
	v_addc_co_u32_e32 v11, vcc, v24, v11, vcc
	v_add_co_u32_e32 v10, vcc, v10, v5
	v_addc_co_u32_e32 v11, vcc, 0, v11, vcc
	s_waitcnt lgkmcnt(0)
	global_store_short v[10:11], v22, off
	s_or_b64 exec, exec, s[0:1]
	s_and_saveexec_b64 s[0:1], s[56:57]
	s_cbranch_execnz .LBB15_283
.LBB15_207:
	s_or_b64 exec, exec, s[0:1]
	s_and_saveexec_b64 s[0:1], s[58:59]
	s_cbranch_execz .LBB15_284
.LBB15_208:
	v_lshlrev_b32_e32 v5, 3, v49
	ds_read_b64 v[5:6], v5
	v_lshlrev_b32_e32 v10, 1, v0
	ds_read_u16 v10, v10 offset:7168
	v_mov_b32_e32 v11, s87
	v_lshlrev_b32_e32 v8, 1, v8
	s_waitcnt lgkmcnt(1)
	v_lshlrev_b64 v[5:6], 1, v[5:6]
	v_add_co_u32_e32 v5, vcc, s86, v5
	v_addc_co_u32_e32 v6, vcc, v11, v6, vcc
	v_add_co_u32_e32 v5, vcc, v5, v8
	v_addc_co_u32_e32 v6, vcc, 0, v6, vcc
	s_waitcnt lgkmcnt(0)
	global_store_short v[5:6], v10, off
	s_or_b64 exec, exec, s[0:1]
	s_and_saveexec_b64 s[0:1], s[60:61]
	s_cbranch_execnz .LBB15_285
.LBB15_209:
	s_or_b64 exec, exec, s[0:1]
	s_and_saveexec_b64 s[0:1], s[62:63]
	s_cbranch_execz .LBB15_286
.LBB15_210:
	v_lshlrev_b32_e32 v5, 3, v43
	ds_read_b64 v[5:6], v5
	v_lshlrev_b32_e32 v8, 1, v0
	ds_read_u16 v8, v8 offset:8192
	v_mov_b32_e32 v10, s87
	s_waitcnt lgkmcnt(1)
	v_lshlrev_b64 v[5:6], 1, v[5:6]
	v_add_co_u32_e32 v5, vcc, s86, v5
	v_addc_co_u32_e32 v6, vcc, v10, v6, vcc
	v_lshlrev_b32_e32 v10, 1, v14
	v_add_co_u32_e32 v5, vcc, v5, v10
	v_addc_co_u32_e32 v6, vcc, 0, v6, vcc
	s_waitcnt lgkmcnt(0)
	global_store_short v[5:6], v8, off
	s_or_b64 exec, exec, s[0:1]
	s_and_saveexec_b64 s[0:1], s[64:65]
	s_cbranch_execnz .LBB15_287
.LBB15_211:
	s_or_b64 exec, exec, s[0:1]
	s_and_saveexec_b64 s[0:1], s[66:67]
	s_cbranch_execz .LBB15_288
.LBB15_212:
	v_lshlrev_b32_e32 v5, 3, v25
	ds_read_b64 v[5:6], v5
	v_lshlrev_b32_e32 v8, 1, v0
	ds_read_u16 v8, v8 offset:9216
	v_mov_b32_e32 v10, s87
	s_waitcnt lgkmcnt(1)
	v_lshlrev_b64 v[5:6], 1, v[5:6]
	v_add_co_u32_e32 v5, vcc, s86, v5
	v_addc_co_u32_e32 v6, vcc, v10, v6, vcc
	v_lshlrev_b32_e32 v10, 1, v16
	v_add_co_u32_e32 v5, vcc, v5, v10
	v_addc_co_u32_e32 v6, vcc, 0, v6, vcc
	s_waitcnt lgkmcnt(0)
	global_store_short v[5:6], v8, off
	s_or_b64 exec, exec, s[0:1]
	s_and_saveexec_b64 s[0:1], s[68:69]
	s_cbranch_execnz .LBB15_289
.LBB15_213:
	s_or_b64 exec, exec, s[0:1]
	s_and_saveexec_b64 s[0:1], s[70:71]
	s_cbranch_execz .LBB15_290
.LBB15_214:
	v_lshlrev_b32_e32 v4, 3, v21
	ds_read_b64 v[4:5], v4
	v_lshlrev_b32_e32 v6, 1, v0
	ds_read_u16 v6, v6 offset:10240
	v_mov_b32_e32 v8, s87
	s_waitcnt lgkmcnt(1)
	v_lshlrev_b64 v[4:5], 1, v[4:5]
	v_add_co_u32_e32 v4, vcc, s86, v4
	v_addc_co_u32_e32 v5, vcc, v8, v5, vcc
	v_lshlrev_b32_e32 v8, 1, v18
	v_add_co_u32_e32 v4, vcc, v4, v8
	v_addc_co_u32_e32 v5, vcc, 0, v5, vcc
	s_waitcnt lgkmcnt(0)
	global_store_short v[4:5], v6, off
	s_or_b64 exec, exec, s[0:1]
	s_and_saveexec_b64 s[0:1], s[72:73]
	s_cbranch_execnz .LBB15_291
.LBB15_215:
	s_or_b64 exec, exec, s[0:1]
	s_add_i32 s33, s33, -1
	s_cmp_eq_u32 s6, s33
	s_cbranch_scc0 .LBB15_217
.LBB15_216:
	ds_read_b64 v[3:4], v7
	v_add_co_u32_e32 v5, vcc, v12, v20
	v_addc_co_u32_e64 v6, s[0:1], 0, 0, vcc
	s_load_dwordx4 s[0:3], s[4:5], 0x28
	s_waitcnt lgkmcnt(0)
	v_add_co_u32_e32 v3, vcc, v5, v3
	v_addc_co_u32_e32 v4, vcc, v6, v4, vcc
	global_store_dwordx2 v7, v[3:4], s[2:3]
.LBB15_217:
	s_mov_b64 s[0:1], 0
.LBB15_218:
	s_and_b64 vcc, exec, s[0:1]
	s_cbranch_vccz .LBB15_273
; %bb.219:
	s_mov_b32 s79, 0
	s_lshl_b64 s[0:1], s[78:79], 2
	v_mbcnt_hi_u32_b32 v8, -1, v9
	s_add_u32 s0, s80, s0
	v_lshlrev_b32_e32 v4, 2, v8
	v_add_co_u32_e32 v4, vcc, s0, v4
	s_load_dword s8, s[4:5], 0x50
	s_load_dword s0, s[4:5], 0x5c
	s_addc_u32 s1, s81, s1
	v_and_b32_e32 v9, 0xc0, v0
	v_mul_u32_u24_e32 v7, 18, v9
	v_mov_b32_e32 v5, s1
	v_addc_co_u32_e32 v5, vcc, 0, v5, vcc
	v_lshlrev_b32_e32 v6, 2, v7
	v_add_co_u32_e32 v4, vcc, v4, v6
	s_add_u32 s1, s4, 0x50
	v_addc_co_u32_e32 v5, vcc, 0, v5, vcc
	s_addc_u32 s2, s5, 0
	s_waitcnt lgkmcnt(0)
	s_lshr_b32 s3, s0, 16
	global_load_dword v10, v[4:5], off
	s_cmp_lt_u32 s6, s8
	s_cselect_b32 s0, 12, 18
	s_add_u32 s0, s1, s0
	v_mov_b32_e32 v3, 0
	s_addc_u32 s1, s2, 0
	global_load_ushort v12, v3, s[0:1]
	v_mul_u32_u24_e32 v6, 20, v0
	ds_write2_b32 v6, v3, v3 offset0:4 offset1:5
	ds_write2_b32 v6, v3, v3 offset0:6 offset1:7
	ds_write_b32 v6, v3 offset:32
	global_load_dword v11, v[4:5], off offset:256
	global_load_dword v15, v[4:5], off offset:512
	;; [unrolled: 1-line block ×15, first 2 shown]
	s_movk_i32 s0, 0x1000
	v_mad_u32_u24 v13, v2, s3, v1
	v_add_co_u32_e32 v1, vcc, s0, v4
	v_addc_co_u32_e32 v2, vcc, 0, v5, vcc
	global_load_dword v24, v[1:2], off
	global_load_dword v18, v[1:2], off offset:256
	s_lshl_b32 s0, -1, s93
	s_not_b32 s9, s0
	s_waitcnt vmcnt(0) lgkmcnt(0)
	s_barrier
	; wave barrier
	v_xor_b32_e32 v5, 0x7fffffff, v10
	v_lshrrev_b32_e32 v1, s92, v5
	v_and_b32_e32 v14, s9, v1
	v_and_b32_e32 v10, 1, v14
	v_lshlrev_b32_e32 v4, 30, v14
	v_mad_u64_u32 v[1:2], s[0:1], v13, v12, v[0:1]
	v_add_co_u32_e32 v12, vcc, -1, v10
	v_addc_co_u32_e64 v13, s[0:1], 0, -1, vcc
	v_mul_lo_u32 v2, v14, 20
	v_cmp_ne_u32_e32 vcc, 0, v10
	v_cmp_gt_i64_e64 s[0:1], 0, v[3:4]
	v_not_b32_e32 v10, v4
	v_lshlrev_b32_e32 v4, 29, v14
	v_xor_b32_e32 v13, vcc_hi, v13
	v_xor_b32_e32 v12, vcc_lo, v12
	v_ashrrev_i32_e32 v10, 31, v10
	v_cmp_gt_i64_e32 vcc, 0, v[3:4]
	v_not_b32_e32 v4, v4
	v_and_b32_e32 v13, exec_hi, v13
	v_and_b32_e32 v12, exec_lo, v12
	v_xor_b32_e32 v16, s1, v10
	v_xor_b32_e32 v10, s0, v10
	v_ashrrev_i32_e32 v4, 31, v4
	v_lshrrev_b32_e32 v20, 6, v1
	v_and_b32_e32 v1, v13, v16
	v_and_b32_e32 v12, v12, v10
	v_xor_b32_e32 v13, vcc_hi, v4
	v_xor_b32_e32 v4, vcc_lo, v4
	v_lshl_add_u32 v10, v20, 2, v2
	v_and_b32_e32 v2, v12, v4
	v_lshlrev_b32_e32 v4, 28, v14
	v_cmp_gt_i64_e32 vcc, 0, v[3:4]
	v_not_b32_e32 v4, v4
	v_ashrrev_i32_e32 v4, 31, v4
	v_xor_b32_e32 v12, vcc_hi, v4
	v_xor_b32_e32 v4, vcc_lo, v4
	v_and_b32_e32 v2, v2, v4
	v_lshlrev_b32_e32 v4, 27, v14
	v_cmp_gt_i64_e32 vcc, 0, v[3:4]
	v_not_b32_e32 v4, v4
	v_and_b32_e32 v1, v1, v13
	v_ashrrev_i32_e32 v4, 31, v4
	v_and_b32_e32 v1, v1, v12
	v_xor_b32_e32 v12, vcc_hi, v4
	v_xor_b32_e32 v4, vcc_lo, v4
	v_and_b32_e32 v2, v2, v4
	v_lshlrev_b32_e32 v4, 26, v14
	v_cmp_gt_i64_e32 vcc, 0, v[3:4]
	v_not_b32_e32 v4, v4
	v_ashrrev_i32_e32 v4, 31, v4
	v_and_b32_e32 v1, v1, v12
	v_xor_b32_e32 v12, vcc_hi, v4
	v_xor_b32_e32 v4, vcc_lo, v4
	v_and_b32_e32 v2, v2, v4
	v_lshlrev_b32_e32 v4, 25, v14
	v_cmp_gt_i64_e32 vcc, 0, v[3:4]
	v_not_b32_e32 v4, v4
	v_ashrrev_i32_e32 v4, 31, v4
	v_and_b32_e32 v1, v1, v12
	v_xor_b32_e32 v12, vcc_hi, v4
	v_xor_b32_e32 v4, vcc_lo, v4
	v_and_b32_e32 v1, v1, v12
	v_and_b32_e32 v12, v2, v4
	v_lshlrev_b32_e32 v4, 24, v14
	v_cmp_gt_i64_e32 vcc, 0, v[3:4]
	v_not_b32_e32 v2, v4
	v_ashrrev_i32_e32 v2, 31, v2
	v_xor_b32_e32 v4, vcc_hi, v2
	v_xor_b32_e32 v13, vcc_lo, v2
	v_and_b32_e32 v2, v1, v4
	v_and_b32_e32 v1, v12, v13
	v_mbcnt_lo_u32_b32 v4, v1, 0
	v_mbcnt_hi_u32_b32 v12, v2, v4
	v_cmp_ne_u64_e32 vcc, 0, v[1:2]
	v_cmp_eq_u32_e64 s[0:1], 0, v12
	s_and_b64 s[2:3], vcc, s[0:1]
	s_and_saveexec_b64 s[0:1], s[2:3]
; %bb.220:
	v_bcnt_u32_b32 v1, v1, 0
	v_bcnt_u32_b32 v1, v2, v1
	ds_write_b32 v10, v1 offset:16
; %bb.221:
	s_or_b64 exec, exec, s[0:1]
	v_xor_b32_e32 v11, 0x7fffffff, v11
	v_lshrrev_b32_e32 v1, s92, v11
	v_and_b32_e32 v1, s9, v1
	v_mul_lo_u32 v2, v1, 20
	v_and_b32_e32 v4, 1, v1
	; wave barrier
	v_lshl_add_u32 v14, v20, 2, v2
	v_add_co_u32_e32 v2, vcc, -1, v4
	v_addc_co_u32_e64 v16, s[0:1], 0, -1, vcc
	v_cmp_ne_u32_e32 vcc, 0, v4
	v_xor_b32_e32 v4, vcc_hi, v16
	v_and_b32_e32 v16, exec_hi, v4
	v_lshlrev_b32_e32 v4, 30, v1
	v_xor_b32_e32 v2, vcc_lo, v2
	v_cmp_gt_i64_e32 vcc, 0, v[3:4]
	v_not_b32_e32 v4, v4
	v_ashrrev_i32_e32 v4, 31, v4
	v_and_b32_e32 v2, exec_lo, v2
	v_xor_b32_e32 v17, vcc_hi, v4
	v_xor_b32_e32 v4, vcc_lo, v4
	v_and_b32_e32 v2, v2, v4
	v_lshlrev_b32_e32 v4, 29, v1
	v_cmp_gt_i64_e32 vcc, 0, v[3:4]
	v_not_b32_e32 v4, v4
	v_ashrrev_i32_e32 v4, 31, v4
	v_and_b32_e32 v16, v16, v17
	v_xor_b32_e32 v17, vcc_hi, v4
	v_xor_b32_e32 v4, vcc_lo, v4
	v_and_b32_e32 v2, v2, v4
	v_lshlrev_b32_e32 v4, 28, v1
	v_cmp_gt_i64_e32 vcc, 0, v[3:4]
	v_not_b32_e32 v4, v4
	v_ashrrev_i32_e32 v4, 31, v4
	v_and_b32_e32 v16, v16, v17
	;; [unrolled: 8-line block ×5, first 2 shown]
	v_xor_b32_e32 v17, vcc_hi, v4
	v_xor_b32_e32 v4, vcc_lo, v4
	v_and_b32_e32 v16, v16, v17
	v_and_b32_e32 v17, v2, v4
	v_lshlrev_b32_e32 v4, 24, v1
	v_cmp_gt_i64_e32 vcc, 0, v[3:4]
	v_not_b32_e32 v1, v4
	v_ashrrev_i32_e32 v1, 31, v1
	v_xor_b32_e32 v2, vcc_hi, v1
	v_xor_b32_e32 v1, vcc_lo, v1
	ds_read_b32 v13, v14 offset:16
	v_and_b32_e32 v1, v17, v1
	v_and_b32_e32 v2, v16, v2
	v_mbcnt_lo_u32_b32 v3, v1, 0
	v_mbcnt_hi_u32_b32 v16, v2, v3
	v_cmp_ne_u64_e32 vcc, 0, v[1:2]
	v_cmp_eq_u32_e64 s[0:1], 0, v16
	s_and_b64 s[2:3], vcc, s[0:1]
	; wave barrier
	s_and_saveexec_b64 s[0:1], s[2:3]
	s_cbranch_execz .LBB15_223
; %bb.222:
	v_bcnt_u32_b32 v1, v1, 0
	v_bcnt_u32_b32 v1, v2, v1
	s_waitcnt lgkmcnt(0)
	v_add_u32_e32 v1, v13, v1
	ds_write_b32 v14, v1 offset:16
.LBB15_223:
	s_or_b64 exec, exec, s[0:1]
	v_xor_b32_e32 v15, 0x7fffffff, v15
	v_lshrrev_b32_e32 v1, s92, v15
	v_and_b32_e32 v3, s9, v1
	v_mul_lo_u32 v1, v3, 20
	v_and_b32_e32 v2, 1, v3
	v_add_co_u32_e32 v4, vcc, -1, v2
	v_addc_co_u32_e64 v22, s[0:1], 0, -1, vcc
	v_cmp_ne_u32_e32 vcc, 0, v2
	v_xor_b32_e32 v2, vcc_hi, v22
	v_lshl_add_u32 v19, v20, 2, v1
	v_mov_b32_e32 v1, 0
	v_and_b32_e32 v22, exec_hi, v2
	v_lshlrev_b32_e32 v2, 30, v3
	v_xor_b32_e32 v4, vcc_lo, v4
	v_cmp_gt_i64_e32 vcc, 0, v[1:2]
	v_not_b32_e32 v2, v2
	v_ashrrev_i32_e32 v2, 31, v2
	v_and_b32_e32 v4, exec_lo, v4
	v_xor_b32_e32 v23, vcc_hi, v2
	v_xor_b32_e32 v2, vcc_lo, v2
	v_and_b32_e32 v4, v4, v2
	v_lshlrev_b32_e32 v2, 29, v3
	v_cmp_gt_i64_e32 vcc, 0, v[1:2]
	v_not_b32_e32 v2, v2
	v_ashrrev_i32_e32 v2, 31, v2
	v_and_b32_e32 v22, v22, v23
	v_xor_b32_e32 v23, vcc_hi, v2
	v_xor_b32_e32 v2, vcc_lo, v2
	v_and_b32_e32 v4, v4, v2
	v_lshlrev_b32_e32 v2, 28, v3
	v_cmp_gt_i64_e32 vcc, 0, v[1:2]
	v_not_b32_e32 v2, v2
	v_ashrrev_i32_e32 v2, 31, v2
	v_and_b32_e32 v22, v22, v23
	;; [unrolled: 8-line block ×5, first 2 shown]
	v_xor_b32_e32 v23, vcc_hi, v2
	v_xor_b32_e32 v2, vcc_lo, v2
	v_and_b32_e32 v4, v4, v2
	v_lshlrev_b32_e32 v2, 24, v3
	v_cmp_gt_i64_e32 vcc, 0, v[1:2]
	v_not_b32_e32 v2, v2
	v_ashrrev_i32_e32 v2, 31, v2
	v_xor_b32_e32 v3, vcc_hi, v2
	v_xor_b32_e32 v2, vcc_lo, v2
	; wave barrier
	ds_read_b32 v17, v19 offset:16
	v_and_b32_e32 v22, v22, v23
	v_and_b32_e32 v2, v4, v2
	;; [unrolled: 1-line block ×3, first 2 shown]
	v_mbcnt_lo_u32_b32 v4, v2, 0
	v_mbcnt_hi_u32_b32 v22, v3, v4
	v_cmp_ne_u64_e32 vcc, 0, v[2:3]
	v_cmp_eq_u32_e64 s[0:1], 0, v22
	s_and_b64 s[2:3], vcc, s[0:1]
	; wave barrier
	s_and_saveexec_b64 s[0:1], s[2:3]
	s_cbranch_execz .LBB15_225
; %bb.224:
	v_bcnt_u32_b32 v2, v2, 0
	v_bcnt_u32_b32 v2, v3, v2
	s_waitcnt lgkmcnt(0)
	v_add_u32_e32 v2, v17, v2
	ds_write_b32 v19, v2 offset:16
.LBB15_225:
	s_or_b64 exec, exec, s[0:1]
	v_xor_b32_e32 v21, 0x7fffffff, v21
	v_lshrrev_b32_e32 v2, s92, v21
	v_and_b32_e32 v3, s9, v2
	v_mul_lo_u32 v2, v3, 20
	v_and_b32_e32 v4, 1, v3
	; wave barrier
	v_lshl_add_u32 v25, v20, 2, v2
	v_add_co_u32_e32 v2, vcc, -1, v4
	v_addc_co_u32_e64 v27, s[0:1], 0, -1, vcc
	v_cmp_ne_u32_e32 vcc, 0, v4
	v_xor_b32_e32 v2, vcc_lo, v2
	v_xor_b32_e32 v4, vcc_hi, v27
	v_and_b32_e32 v27, exec_lo, v2
	v_lshlrev_b32_e32 v2, 30, v3
	v_cmp_gt_i64_e32 vcc, 0, v[1:2]
	v_not_b32_e32 v2, v2
	v_ashrrev_i32_e32 v2, 31, v2
	v_xor_b32_e32 v28, vcc_hi, v2
	v_xor_b32_e32 v2, vcc_lo, v2
	v_and_b32_e32 v27, v27, v2
	v_lshlrev_b32_e32 v2, 29, v3
	v_cmp_gt_i64_e32 vcc, 0, v[1:2]
	v_not_b32_e32 v2, v2
	v_and_b32_e32 v4, exec_hi, v4
	v_ashrrev_i32_e32 v2, 31, v2
	v_and_b32_e32 v4, v4, v28
	v_xor_b32_e32 v28, vcc_hi, v2
	v_xor_b32_e32 v2, vcc_lo, v2
	v_and_b32_e32 v27, v27, v2
	v_lshlrev_b32_e32 v2, 28, v3
	v_cmp_gt_i64_e32 vcc, 0, v[1:2]
	v_not_b32_e32 v2, v2
	v_ashrrev_i32_e32 v2, 31, v2
	v_and_b32_e32 v4, v4, v28
	v_xor_b32_e32 v28, vcc_hi, v2
	v_xor_b32_e32 v2, vcc_lo, v2
	v_and_b32_e32 v27, v27, v2
	v_lshlrev_b32_e32 v2, 27, v3
	v_cmp_gt_i64_e32 vcc, 0, v[1:2]
	v_not_b32_e32 v2, v2
	v_ashrrev_i32_e32 v2, 31, v2
	v_and_b32_e32 v4, v4, v28
	v_xor_b32_e32 v28, vcc_hi, v2
	v_xor_b32_e32 v2, vcc_lo, v2
	v_and_b32_e32 v27, v27, v2
	v_lshlrev_b32_e32 v2, 26, v3
	v_cmp_gt_i64_e32 vcc, 0, v[1:2]
	v_not_b32_e32 v2, v2
	v_ashrrev_i32_e32 v2, 31, v2
	v_and_b32_e32 v4, v4, v28
	v_xor_b32_e32 v28, vcc_hi, v2
	v_xor_b32_e32 v2, vcc_lo, v2
	v_and_b32_e32 v27, v27, v2
	v_lshlrev_b32_e32 v2, 25, v3
	v_cmp_gt_i64_e32 vcc, 0, v[1:2]
	v_not_b32_e32 v2, v2
	v_ashrrev_i32_e32 v2, 31, v2
	v_and_b32_e32 v4, v4, v28
	v_xor_b32_e32 v28, vcc_hi, v2
	v_xor_b32_e32 v2, vcc_lo, v2
	v_and_b32_e32 v27, v27, v2
	v_lshlrev_b32_e32 v2, 24, v3
	v_cmp_gt_i64_e32 vcc, 0, v[1:2]
	v_not_b32_e32 v1, v2
	v_ashrrev_i32_e32 v1, 31, v1
	v_xor_b32_e32 v2, vcc_hi, v1
	v_xor_b32_e32 v1, vcc_lo, v1
	ds_read_b32 v23, v25 offset:16
	v_and_b32_e32 v4, v4, v28
	v_and_b32_e32 v1, v27, v1
	;; [unrolled: 1-line block ×3, first 2 shown]
	v_mbcnt_lo_u32_b32 v3, v1, 0
	v_mbcnt_hi_u32_b32 v27, v2, v3
	v_cmp_ne_u64_e32 vcc, 0, v[1:2]
	v_cmp_eq_u32_e64 s[0:1], 0, v27
	s_and_b64 s[2:3], vcc, s[0:1]
	; wave barrier
	s_and_saveexec_b64 s[0:1], s[2:3]
	s_cbranch_execz .LBB15_227
; %bb.226:
	v_bcnt_u32_b32 v1, v1, 0
	v_bcnt_u32_b32 v1, v2, v1
	s_waitcnt lgkmcnt(0)
	v_add_u32_e32 v1, v23, v1
	ds_write_b32 v25, v1 offset:16
.LBB15_227:
	s_or_b64 exec, exec, s[0:1]
	v_xor_b32_e32 v26, 0x7fffffff, v26
	v_lshrrev_b32_e32 v1, s92, v26
	v_and_b32_e32 v3, s9, v1
	v_mul_lo_u32 v1, v3, 20
	v_and_b32_e32 v2, 1, v3
	v_add_co_u32_e32 v4, vcc, -1, v2
	v_addc_co_u32_e64 v32, s[0:1], 0, -1, vcc
	v_cmp_ne_u32_e32 vcc, 0, v2
	v_xor_b32_e32 v2, vcc_hi, v32
	v_lshl_add_u32 v30, v20, 2, v1
	v_mov_b32_e32 v1, 0
	v_and_b32_e32 v32, exec_hi, v2
	v_lshlrev_b32_e32 v2, 30, v3
	v_xor_b32_e32 v4, vcc_lo, v4
	v_cmp_gt_i64_e32 vcc, 0, v[1:2]
	v_not_b32_e32 v2, v2
	v_ashrrev_i32_e32 v2, 31, v2
	v_and_b32_e32 v4, exec_lo, v4
	v_xor_b32_e32 v33, vcc_hi, v2
	v_xor_b32_e32 v2, vcc_lo, v2
	v_and_b32_e32 v4, v4, v2
	v_lshlrev_b32_e32 v2, 29, v3
	v_cmp_gt_i64_e32 vcc, 0, v[1:2]
	v_not_b32_e32 v2, v2
	v_ashrrev_i32_e32 v2, 31, v2
	v_and_b32_e32 v32, v32, v33
	v_xor_b32_e32 v33, vcc_hi, v2
	v_xor_b32_e32 v2, vcc_lo, v2
	v_and_b32_e32 v4, v4, v2
	v_lshlrev_b32_e32 v2, 28, v3
	v_cmp_gt_i64_e32 vcc, 0, v[1:2]
	v_not_b32_e32 v2, v2
	v_ashrrev_i32_e32 v2, 31, v2
	v_and_b32_e32 v32, v32, v33
	;; [unrolled: 8-line block ×5, first 2 shown]
	v_xor_b32_e32 v33, vcc_hi, v2
	v_xor_b32_e32 v2, vcc_lo, v2
	v_and_b32_e32 v4, v4, v2
	v_lshlrev_b32_e32 v2, 24, v3
	v_cmp_gt_i64_e32 vcc, 0, v[1:2]
	v_not_b32_e32 v2, v2
	v_ashrrev_i32_e32 v2, 31, v2
	v_xor_b32_e32 v3, vcc_hi, v2
	v_xor_b32_e32 v2, vcc_lo, v2
	; wave barrier
	ds_read_b32 v28, v30 offset:16
	v_and_b32_e32 v32, v32, v33
	v_and_b32_e32 v2, v4, v2
	;; [unrolled: 1-line block ×3, first 2 shown]
	v_mbcnt_lo_u32_b32 v4, v2, 0
	v_mbcnt_hi_u32_b32 v32, v3, v4
	v_cmp_ne_u64_e32 vcc, 0, v[2:3]
	v_cmp_eq_u32_e64 s[0:1], 0, v32
	s_and_b64 s[2:3], vcc, s[0:1]
	; wave barrier
	s_and_saveexec_b64 s[0:1], s[2:3]
	s_cbranch_execz .LBB15_229
; %bb.228:
	v_bcnt_u32_b32 v2, v2, 0
	v_bcnt_u32_b32 v2, v3, v2
	s_waitcnt lgkmcnt(0)
	v_add_u32_e32 v2, v28, v2
	ds_write_b32 v30, v2 offset:16
.LBB15_229:
	s_or_b64 exec, exec, s[0:1]
	v_xor_b32_e32 v31, 0x7fffffff, v31
	v_lshrrev_b32_e32 v2, s92, v31
	v_and_b32_e32 v3, s9, v2
	v_mul_lo_u32 v2, v3, 20
	v_and_b32_e32 v4, 1, v3
	; wave barrier
	v_lshl_add_u32 v35, v20, 2, v2
	v_add_co_u32_e32 v2, vcc, -1, v4
	v_addc_co_u32_e64 v37, s[0:1], 0, -1, vcc
	v_cmp_ne_u32_e32 vcc, 0, v4
	v_xor_b32_e32 v2, vcc_lo, v2
	v_xor_b32_e32 v4, vcc_hi, v37
	v_and_b32_e32 v37, exec_lo, v2
	v_lshlrev_b32_e32 v2, 30, v3
	v_cmp_gt_i64_e32 vcc, 0, v[1:2]
	v_not_b32_e32 v2, v2
	v_ashrrev_i32_e32 v2, 31, v2
	v_xor_b32_e32 v38, vcc_hi, v2
	v_xor_b32_e32 v2, vcc_lo, v2
	v_and_b32_e32 v37, v37, v2
	v_lshlrev_b32_e32 v2, 29, v3
	v_cmp_gt_i64_e32 vcc, 0, v[1:2]
	v_not_b32_e32 v2, v2
	v_and_b32_e32 v4, exec_hi, v4
	v_ashrrev_i32_e32 v2, 31, v2
	v_and_b32_e32 v4, v4, v38
	v_xor_b32_e32 v38, vcc_hi, v2
	v_xor_b32_e32 v2, vcc_lo, v2
	v_and_b32_e32 v37, v37, v2
	v_lshlrev_b32_e32 v2, 28, v3
	v_cmp_gt_i64_e32 vcc, 0, v[1:2]
	v_not_b32_e32 v2, v2
	v_ashrrev_i32_e32 v2, 31, v2
	v_and_b32_e32 v4, v4, v38
	v_xor_b32_e32 v38, vcc_hi, v2
	v_xor_b32_e32 v2, vcc_lo, v2
	v_and_b32_e32 v37, v37, v2
	v_lshlrev_b32_e32 v2, 27, v3
	v_cmp_gt_i64_e32 vcc, 0, v[1:2]
	v_not_b32_e32 v2, v2
	;; [unrolled: 8-line block ×5, first 2 shown]
	v_ashrrev_i32_e32 v1, 31, v1
	v_xor_b32_e32 v2, vcc_hi, v1
	v_xor_b32_e32 v1, vcc_lo, v1
	ds_read_b32 v33, v35 offset:16
	v_and_b32_e32 v4, v4, v38
	v_and_b32_e32 v1, v37, v1
	;; [unrolled: 1-line block ×3, first 2 shown]
	v_mbcnt_lo_u32_b32 v3, v1, 0
	v_mbcnt_hi_u32_b32 v37, v2, v3
	v_cmp_ne_u64_e32 vcc, 0, v[1:2]
	v_cmp_eq_u32_e64 s[0:1], 0, v37
	s_and_b64 s[2:3], vcc, s[0:1]
	; wave barrier
	s_and_saveexec_b64 s[0:1], s[2:3]
	s_cbranch_execz .LBB15_231
; %bb.230:
	v_bcnt_u32_b32 v1, v1, 0
	v_bcnt_u32_b32 v1, v2, v1
	s_waitcnt lgkmcnt(0)
	v_add_u32_e32 v1, v33, v1
	ds_write_b32 v35, v1 offset:16
.LBB15_231:
	s_or_b64 exec, exec, s[0:1]
	v_xor_b32_e32 v36, 0x7fffffff, v36
	v_lshrrev_b32_e32 v1, s92, v36
	v_and_b32_e32 v3, s9, v1
	v_mul_lo_u32 v1, v3, 20
	v_and_b32_e32 v2, 1, v3
	v_add_co_u32_e32 v4, vcc, -1, v2
	v_addc_co_u32_e64 v42, s[0:1], 0, -1, vcc
	v_cmp_ne_u32_e32 vcc, 0, v2
	v_xor_b32_e32 v2, vcc_hi, v42
	v_lshl_add_u32 v40, v20, 2, v1
	v_mov_b32_e32 v1, 0
	v_and_b32_e32 v42, exec_hi, v2
	v_lshlrev_b32_e32 v2, 30, v3
	v_xor_b32_e32 v4, vcc_lo, v4
	v_cmp_gt_i64_e32 vcc, 0, v[1:2]
	v_not_b32_e32 v2, v2
	v_ashrrev_i32_e32 v2, 31, v2
	v_and_b32_e32 v4, exec_lo, v4
	v_xor_b32_e32 v43, vcc_hi, v2
	v_xor_b32_e32 v2, vcc_lo, v2
	v_and_b32_e32 v4, v4, v2
	v_lshlrev_b32_e32 v2, 29, v3
	v_cmp_gt_i64_e32 vcc, 0, v[1:2]
	v_not_b32_e32 v2, v2
	v_ashrrev_i32_e32 v2, 31, v2
	v_and_b32_e32 v42, v42, v43
	v_xor_b32_e32 v43, vcc_hi, v2
	v_xor_b32_e32 v2, vcc_lo, v2
	v_and_b32_e32 v4, v4, v2
	v_lshlrev_b32_e32 v2, 28, v3
	v_cmp_gt_i64_e32 vcc, 0, v[1:2]
	v_not_b32_e32 v2, v2
	v_ashrrev_i32_e32 v2, 31, v2
	v_and_b32_e32 v42, v42, v43
	;; [unrolled: 8-line block ×5, first 2 shown]
	v_xor_b32_e32 v43, vcc_hi, v2
	v_xor_b32_e32 v2, vcc_lo, v2
	v_and_b32_e32 v4, v4, v2
	v_lshlrev_b32_e32 v2, 24, v3
	v_cmp_gt_i64_e32 vcc, 0, v[1:2]
	v_not_b32_e32 v2, v2
	v_ashrrev_i32_e32 v2, 31, v2
	v_xor_b32_e32 v3, vcc_hi, v2
	v_xor_b32_e32 v2, vcc_lo, v2
	; wave barrier
	ds_read_b32 v38, v40 offset:16
	v_and_b32_e32 v42, v42, v43
	v_and_b32_e32 v2, v4, v2
	v_and_b32_e32 v3, v42, v3
	v_mbcnt_lo_u32_b32 v4, v2, 0
	v_mbcnt_hi_u32_b32 v42, v3, v4
	v_cmp_ne_u64_e32 vcc, 0, v[2:3]
	v_cmp_eq_u32_e64 s[0:1], 0, v42
	s_and_b64 s[2:3], vcc, s[0:1]
	; wave barrier
	s_and_saveexec_b64 s[0:1], s[2:3]
	s_cbranch_execz .LBB15_233
; %bb.232:
	v_bcnt_u32_b32 v2, v2, 0
	v_bcnt_u32_b32 v2, v3, v2
	s_waitcnt lgkmcnt(0)
	v_add_u32_e32 v2, v38, v2
	ds_write_b32 v40, v2 offset:16
.LBB15_233:
	s_or_b64 exec, exec, s[0:1]
	v_xor_b32_e32 v41, 0x7fffffff, v41
	v_lshrrev_b32_e32 v2, s92, v41
	v_and_b32_e32 v3, s9, v2
	v_mul_lo_u32 v2, v3, 20
	v_and_b32_e32 v4, 1, v3
	; wave barrier
	v_lshl_add_u32 v45, v20, 2, v2
	v_add_co_u32_e32 v2, vcc, -1, v4
	v_addc_co_u32_e64 v47, s[0:1], 0, -1, vcc
	v_cmp_ne_u32_e32 vcc, 0, v4
	v_xor_b32_e32 v2, vcc_lo, v2
	v_xor_b32_e32 v4, vcc_hi, v47
	v_and_b32_e32 v47, exec_lo, v2
	v_lshlrev_b32_e32 v2, 30, v3
	v_cmp_gt_i64_e32 vcc, 0, v[1:2]
	v_not_b32_e32 v2, v2
	v_ashrrev_i32_e32 v2, 31, v2
	v_xor_b32_e32 v48, vcc_hi, v2
	v_xor_b32_e32 v2, vcc_lo, v2
	v_and_b32_e32 v47, v47, v2
	v_lshlrev_b32_e32 v2, 29, v3
	v_cmp_gt_i64_e32 vcc, 0, v[1:2]
	v_not_b32_e32 v2, v2
	v_and_b32_e32 v4, exec_hi, v4
	v_ashrrev_i32_e32 v2, 31, v2
	v_and_b32_e32 v4, v4, v48
	v_xor_b32_e32 v48, vcc_hi, v2
	v_xor_b32_e32 v2, vcc_lo, v2
	v_and_b32_e32 v47, v47, v2
	v_lshlrev_b32_e32 v2, 28, v3
	v_cmp_gt_i64_e32 vcc, 0, v[1:2]
	v_not_b32_e32 v2, v2
	v_ashrrev_i32_e32 v2, 31, v2
	v_and_b32_e32 v4, v4, v48
	v_xor_b32_e32 v48, vcc_hi, v2
	v_xor_b32_e32 v2, vcc_lo, v2
	v_and_b32_e32 v47, v47, v2
	v_lshlrev_b32_e32 v2, 27, v3
	v_cmp_gt_i64_e32 vcc, 0, v[1:2]
	v_not_b32_e32 v2, v2
	;; [unrolled: 8-line block ×5, first 2 shown]
	v_ashrrev_i32_e32 v1, 31, v1
	v_xor_b32_e32 v2, vcc_hi, v1
	v_xor_b32_e32 v1, vcc_lo, v1
	ds_read_b32 v43, v45 offset:16
	v_and_b32_e32 v4, v4, v48
	v_and_b32_e32 v1, v47, v1
	;; [unrolled: 1-line block ×3, first 2 shown]
	v_mbcnt_lo_u32_b32 v3, v1, 0
	v_mbcnt_hi_u32_b32 v47, v2, v3
	v_cmp_ne_u64_e32 vcc, 0, v[1:2]
	v_cmp_eq_u32_e64 s[0:1], 0, v47
	s_and_b64 s[2:3], vcc, s[0:1]
	; wave barrier
	s_and_saveexec_b64 s[0:1], s[2:3]
	s_cbranch_execz .LBB15_235
; %bb.234:
	v_bcnt_u32_b32 v1, v1, 0
	v_bcnt_u32_b32 v1, v2, v1
	s_waitcnt lgkmcnt(0)
	v_add_u32_e32 v1, v43, v1
	ds_write_b32 v45, v1 offset:16
.LBB15_235:
	s_or_b64 exec, exec, s[0:1]
	v_xor_b32_e32 v46, 0x7fffffff, v46
	v_lshrrev_b32_e32 v1, s92, v46
	v_and_b32_e32 v3, s9, v1
	v_mul_lo_u32 v1, v3, 20
	v_and_b32_e32 v2, 1, v3
	v_add_co_u32_e32 v4, vcc, -1, v2
	v_addc_co_u32_e64 v52, s[0:1], 0, -1, vcc
	v_cmp_ne_u32_e32 vcc, 0, v2
	v_xor_b32_e32 v2, vcc_hi, v52
	v_lshl_add_u32 v50, v20, 2, v1
	v_mov_b32_e32 v1, 0
	v_and_b32_e32 v52, exec_hi, v2
	v_lshlrev_b32_e32 v2, 30, v3
	v_xor_b32_e32 v4, vcc_lo, v4
	v_cmp_gt_i64_e32 vcc, 0, v[1:2]
	v_not_b32_e32 v2, v2
	v_ashrrev_i32_e32 v2, 31, v2
	v_and_b32_e32 v4, exec_lo, v4
	v_xor_b32_e32 v53, vcc_hi, v2
	v_xor_b32_e32 v2, vcc_lo, v2
	v_and_b32_e32 v4, v4, v2
	v_lshlrev_b32_e32 v2, 29, v3
	v_cmp_gt_i64_e32 vcc, 0, v[1:2]
	v_not_b32_e32 v2, v2
	v_ashrrev_i32_e32 v2, 31, v2
	v_and_b32_e32 v52, v52, v53
	v_xor_b32_e32 v53, vcc_hi, v2
	v_xor_b32_e32 v2, vcc_lo, v2
	v_and_b32_e32 v4, v4, v2
	v_lshlrev_b32_e32 v2, 28, v3
	v_cmp_gt_i64_e32 vcc, 0, v[1:2]
	v_not_b32_e32 v2, v2
	v_ashrrev_i32_e32 v2, 31, v2
	v_and_b32_e32 v52, v52, v53
	;; [unrolled: 8-line block ×5, first 2 shown]
	v_xor_b32_e32 v53, vcc_hi, v2
	v_xor_b32_e32 v2, vcc_lo, v2
	v_and_b32_e32 v4, v4, v2
	v_lshlrev_b32_e32 v2, 24, v3
	v_cmp_gt_i64_e32 vcc, 0, v[1:2]
	v_not_b32_e32 v2, v2
	v_ashrrev_i32_e32 v2, 31, v2
	v_xor_b32_e32 v3, vcc_hi, v2
	v_xor_b32_e32 v2, vcc_lo, v2
	; wave barrier
	ds_read_b32 v48, v50 offset:16
	v_and_b32_e32 v52, v52, v53
	v_and_b32_e32 v2, v4, v2
	;; [unrolled: 1-line block ×3, first 2 shown]
	v_mbcnt_lo_u32_b32 v4, v2, 0
	v_mbcnt_hi_u32_b32 v52, v3, v4
	v_cmp_ne_u64_e32 vcc, 0, v[2:3]
	v_cmp_eq_u32_e64 s[0:1], 0, v52
	s_and_b64 s[2:3], vcc, s[0:1]
	; wave barrier
	s_and_saveexec_b64 s[0:1], s[2:3]
	s_cbranch_execz .LBB15_237
; %bb.236:
	v_bcnt_u32_b32 v2, v2, 0
	v_bcnt_u32_b32 v2, v3, v2
	s_waitcnt lgkmcnt(0)
	v_add_u32_e32 v2, v48, v2
	ds_write_b32 v50, v2 offset:16
.LBB15_237:
	s_or_b64 exec, exec, s[0:1]
	v_xor_b32_e32 v51, 0x7fffffff, v51
	v_lshrrev_b32_e32 v2, s92, v51
	v_and_b32_e32 v3, s9, v2
	v_mul_lo_u32 v2, v3, 20
	v_and_b32_e32 v4, 1, v3
	; wave barrier
	v_lshl_add_u32 v55, v20, 2, v2
	v_add_co_u32_e32 v2, vcc, -1, v4
	v_addc_co_u32_e64 v56, s[0:1], 0, -1, vcc
	v_cmp_ne_u32_e32 vcc, 0, v4
	v_xor_b32_e32 v2, vcc_lo, v2
	v_xor_b32_e32 v4, vcc_hi, v56
	v_and_b32_e32 v56, exec_lo, v2
	v_lshlrev_b32_e32 v2, 30, v3
	v_cmp_gt_i64_e32 vcc, 0, v[1:2]
	v_not_b32_e32 v2, v2
	v_ashrrev_i32_e32 v2, 31, v2
	v_xor_b32_e32 v57, vcc_hi, v2
	v_xor_b32_e32 v2, vcc_lo, v2
	v_and_b32_e32 v56, v56, v2
	v_lshlrev_b32_e32 v2, 29, v3
	v_cmp_gt_i64_e32 vcc, 0, v[1:2]
	v_not_b32_e32 v2, v2
	v_and_b32_e32 v4, exec_hi, v4
	v_ashrrev_i32_e32 v2, 31, v2
	v_and_b32_e32 v4, v4, v57
	v_xor_b32_e32 v57, vcc_hi, v2
	v_xor_b32_e32 v2, vcc_lo, v2
	v_and_b32_e32 v56, v56, v2
	v_lshlrev_b32_e32 v2, 28, v3
	v_cmp_gt_i64_e32 vcc, 0, v[1:2]
	v_not_b32_e32 v2, v2
	v_ashrrev_i32_e32 v2, 31, v2
	v_and_b32_e32 v4, v4, v57
	v_xor_b32_e32 v57, vcc_hi, v2
	v_xor_b32_e32 v2, vcc_lo, v2
	v_and_b32_e32 v56, v56, v2
	v_lshlrev_b32_e32 v2, 27, v3
	v_cmp_gt_i64_e32 vcc, 0, v[1:2]
	v_not_b32_e32 v2, v2
	v_ashrrev_i32_e32 v2, 31, v2
	v_and_b32_e32 v4, v4, v57
	v_xor_b32_e32 v57, vcc_hi, v2
	v_xor_b32_e32 v2, vcc_lo, v2
	v_and_b32_e32 v56, v56, v2
	v_lshlrev_b32_e32 v2, 26, v3
	v_cmp_gt_i64_e32 vcc, 0, v[1:2]
	v_not_b32_e32 v2, v2
	v_ashrrev_i32_e32 v2, 31, v2
	v_and_b32_e32 v4, v4, v57
	v_xor_b32_e32 v57, vcc_hi, v2
	v_xor_b32_e32 v2, vcc_lo, v2
	v_and_b32_e32 v56, v56, v2
	v_lshlrev_b32_e32 v2, 25, v3
	v_cmp_gt_i64_e32 vcc, 0, v[1:2]
	v_not_b32_e32 v2, v2
	v_ashrrev_i32_e32 v2, 31, v2
	v_and_b32_e32 v4, v4, v57
	v_xor_b32_e32 v57, vcc_hi, v2
	v_xor_b32_e32 v2, vcc_lo, v2
	v_and_b32_e32 v56, v56, v2
	v_lshlrev_b32_e32 v2, 24, v3
	v_cmp_gt_i64_e32 vcc, 0, v[1:2]
	v_not_b32_e32 v1, v2
	v_ashrrev_i32_e32 v1, 31, v1
	v_xor_b32_e32 v2, vcc_hi, v1
	v_xor_b32_e32 v1, vcc_lo, v1
	ds_read_b32 v53, v55 offset:16
	v_and_b32_e32 v4, v4, v57
	v_and_b32_e32 v1, v56, v1
	;; [unrolled: 1-line block ×3, first 2 shown]
	v_mbcnt_lo_u32_b32 v3, v1, 0
	v_mbcnt_hi_u32_b32 v56, v2, v3
	v_cmp_ne_u64_e32 vcc, 0, v[1:2]
	v_cmp_eq_u32_e64 s[0:1], 0, v56
	s_and_b64 s[2:3], vcc, s[0:1]
	; wave barrier
	s_and_saveexec_b64 s[0:1], s[2:3]
	s_cbranch_execz .LBB15_239
; %bb.238:
	v_bcnt_u32_b32 v1, v1, 0
	v_bcnt_u32_b32 v1, v2, v1
	s_waitcnt lgkmcnt(0)
	v_add_u32_e32 v1, v53, v1
	ds_write_b32 v55, v1 offset:16
.LBB15_239:
	s_or_b64 exec, exec, s[0:1]
	v_xor_b32_e32 v54, 0x7fffffff, v54
	v_lshrrev_b32_e32 v1, s92, v54
	v_and_b32_e32 v3, s9, v1
	v_mul_lo_u32 v1, v3, 20
	v_and_b32_e32 v2, 1, v3
	v_add_co_u32_e32 v4, vcc, -1, v2
	v_addc_co_u32_e64 v59, s[0:1], 0, -1, vcc
	v_cmp_ne_u32_e32 vcc, 0, v2
	v_xor_b32_e32 v2, vcc_hi, v59
	v_lshl_add_u32 v58, v20, 2, v1
	v_mov_b32_e32 v1, 0
	v_and_b32_e32 v59, exec_hi, v2
	v_lshlrev_b32_e32 v2, 30, v3
	v_xor_b32_e32 v4, vcc_lo, v4
	v_cmp_gt_i64_e32 vcc, 0, v[1:2]
	v_not_b32_e32 v2, v2
	v_ashrrev_i32_e32 v2, 31, v2
	v_and_b32_e32 v4, exec_lo, v4
	v_xor_b32_e32 v60, vcc_hi, v2
	v_xor_b32_e32 v2, vcc_lo, v2
	v_and_b32_e32 v4, v4, v2
	v_lshlrev_b32_e32 v2, 29, v3
	v_cmp_gt_i64_e32 vcc, 0, v[1:2]
	v_not_b32_e32 v2, v2
	v_ashrrev_i32_e32 v2, 31, v2
	v_and_b32_e32 v59, v59, v60
	v_xor_b32_e32 v60, vcc_hi, v2
	v_xor_b32_e32 v2, vcc_lo, v2
	v_and_b32_e32 v4, v4, v2
	v_lshlrev_b32_e32 v2, 28, v3
	v_cmp_gt_i64_e32 vcc, 0, v[1:2]
	v_not_b32_e32 v2, v2
	v_ashrrev_i32_e32 v2, 31, v2
	v_and_b32_e32 v59, v59, v60
	;; [unrolled: 8-line block ×5, first 2 shown]
	v_xor_b32_e32 v60, vcc_hi, v2
	v_xor_b32_e32 v2, vcc_lo, v2
	v_and_b32_e32 v4, v4, v2
	v_lshlrev_b32_e32 v2, 24, v3
	v_cmp_gt_i64_e32 vcc, 0, v[1:2]
	v_not_b32_e32 v2, v2
	v_ashrrev_i32_e32 v2, 31, v2
	v_xor_b32_e32 v3, vcc_hi, v2
	v_xor_b32_e32 v2, vcc_lo, v2
	; wave barrier
	ds_read_b32 v57, v58 offset:16
	v_and_b32_e32 v59, v59, v60
	v_and_b32_e32 v2, v4, v2
	;; [unrolled: 1-line block ×3, first 2 shown]
	v_mbcnt_lo_u32_b32 v4, v2, 0
	v_mbcnt_hi_u32_b32 v59, v3, v4
	v_cmp_ne_u64_e32 vcc, 0, v[2:3]
	v_cmp_eq_u32_e64 s[0:1], 0, v59
	s_and_b64 s[2:3], vcc, s[0:1]
	; wave barrier
	s_and_saveexec_b64 s[0:1], s[2:3]
	s_cbranch_execz .LBB15_241
; %bb.240:
	v_bcnt_u32_b32 v2, v2, 0
	v_bcnt_u32_b32 v2, v3, v2
	s_waitcnt lgkmcnt(0)
	v_add_u32_e32 v2, v57, v2
	ds_write_b32 v58, v2 offset:16
.LBB15_241:
	s_or_b64 exec, exec, s[0:1]
	v_xor_b32_e32 v49, 0x7fffffff, v49
	v_lshrrev_b32_e32 v2, s92, v49
	v_and_b32_e32 v3, s9, v2
	v_mul_lo_u32 v2, v3, 20
	v_and_b32_e32 v4, 1, v3
	; wave barrier
	v_lshl_add_u32 v61, v20, 2, v2
	v_add_co_u32_e32 v2, vcc, -1, v4
	v_addc_co_u32_e64 v62, s[0:1], 0, -1, vcc
	v_cmp_ne_u32_e32 vcc, 0, v4
	v_xor_b32_e32 v2, vcc_lo, v2
	v_xor_b32_e32 v4, vcc_hi, v62
	v_and_b32_e32 v62, exec_lo, v2
	v_lshlrev_b32_e32 v2, 30, v3
	v_cmp_gt_i64_e32 vcc, 0, v[1:2]
	v_not_b32_e32 v2, v2
	v_ashrrev_i32_e32 v2, 31, v2
	v_xor_b32_e32 v63, vcc_hi, v2
	v_xor_b32_e32 v2, vcc_lo, v2
	v_and_b32_e32 v62, v62, v2
	v_lshlrev_b32_e32 v2, 29, v3
	v_cmp_gt_i64_e32 vcc, 0, v[1:2]
	v_not_b32_e32 v2, v2
	v_and_b32_e32 v4, exec_hi, v4
	v_ashrrev_i32_e32 v2, 31, v2
	v_and_b32_e32 v4, v4, v63
	v_xor_b32_e32 v63, vcc_hi, v2
	v_xor_b32_e32 v2, vcc_lo, v2
	v_and_b32_e32 v62, v62, v2
	v_lshlrev_b32_e32 v2, 28, v3
	v_cmp_gt_i64_e32 vcc, 0, v[1:2]
	v_not_b32_e32 v2, v2
	v_ashrrev_i32_e32 v2, 31, v2
	v_and_b32_e32 v4, v4, v63
	v_xor_b32_e32 v63, vcc_hi, v2
	v_xor_b32_e32 v2, vcc_lo, v2
	v_and_b32_e32 v62, v62, v2
	v_lshlrev_b32_e32 v2, 27, v3
	v_cmp_gt_i64_e32 vcc, 0, v[1:2]
	v_not_b32_e32 v2, v2
	;; [unrolled: 8-line block ×5, first 2 shown]
	v_ashrrev_i32_e32 v1, 31, v1
	v_xor_b32_e32 v2, vcc_hi, v1
	v_xor_b32_e32 v1, vcc_lo, v1
	ds_read_b32 v60, v61 offset:16
	v_and_b32_e32 v4, v4, v63
	v_and_b32_e32 v1, v62, v1
	;; [unrolled: 1-line block ×3, first 2 shown]
	v_mbcnt_lo_u32_b32 v3, v1, 0
	v_mbcnt_hi_u32_b32 v62, v2, v3
	v_cmp_ne_u64_e32 vcc, 0, v[1:2]
	v_cmp_eq_u32_e64 s[0:1], 0, v62
	s_and_b64 s[2:3], vcc, s[0:1]
	; wave barrier
	s_and_saveexec_b64 s[0:1], s[2:3]
	s_cbranch_execz .LBB15_243
; %bb.242:
	v_bcnt_u32_b32 v1, v1, 0
	v_bcnt_u32_b32 v1, v2, v1
	s_waitcnt lgkmcnt(0)
	v_add_u32_e32 v1, v60, v1
	ds_write_b32 v61, v1 offset:16
.LBB15_243:
	s_or_b64 exec, exec, s[0:1]
	v_xor_b32_e32 v44, 0x7fffffff, v44
	v_lshrrev_b32_e32 v1, s92, v44
	v_and_b32_e32 v3, s9, v1
	v_mul_lo_u32 v1, v3, 20
	v_and_b32_e32 v2, 1, v3
	v_add_co_u32_e32 v4, vcc, -1, v2
	v_addc_co_u32_e64 v65, s[0:1], 0, -1, vcc
	v_cmp_ne_u32_e32 vcc, 0, v2
	v_xor_b32_e32 v2, vcc_hi, v65
	v_lshl_add_u32 v64, v20, 2, v1
	v_mov_b32_e32 v1, 0
	v_and_b32_e32 v65, exec_hi, v2
	v_lshlrev_b32_e32 v2, 30, v3
	v_xor_b32_e32 v4, vcc_lo, v4
	v_cmp_gt_i64_e32 vcc, 0, v[1:2]
	v_not_b32_e32 v2, v2
	v_ashrrev_i32_e32 v2, 31, v2
	v_and_b32_e32 v4, exec_lo, v4
	v_xor_b32_e32 v66, vcc_hi, v2
	v_xor_b32_e32 v2, vcc_lo, v2
	v_and_b32_e32 v4, v4, v2
	v_lshlrev_b32_e32 v2, 29, v3
	v_cmp_gt_i64_e32 vcc, 0, v[1:2]
	v_not_b32_e32 v2, v2
	v_ashrrev_i32_e32 v2, 31, v2
	v_and_b32_e32 v65, v65, v66
	v_xor_b32_e32 v66, vcc_hi, v2
	v_xor_b32_e32 v2, vcc_lo, v2
	v_and_b32_e32 v4, v4, v2
	v_lshlrev_b32_e32 v2, 28, v3
	v_cmp_gt_i64_e32 vcc, 0, v[1:2]
	v_not_b32_e32 v2, v2
	v_ashrrev_i32_e32 v2, 31, v2
	v_and_b32_e32 v65, v65, v66
	;; [unrolled: 8-line block ×5, first 2 shown]
	v_xor_b32_e32 v66, vcc_hi, v2
	v_xor_b32_e32 v2, vcc_lo, v2
	v_and_b32_e32 v4, v4, v2
	v_lshlrev_b32_e32 v2, 24, v3
	v_cmp_gt_i64_e32 vcc, 0, v[1:2]
	v_not_b32_e32 v2, v2
	v_ashrrev_i32_e32 v2, 31, v2
	v_xor_b32_e32 v3, vcc_hi, v2
	v_xor_b32_e32 v2, vcc_lo, v2
	; wave barrier
	ds_read_b32 v63, v64 offset:16
	v_and_b32_e32 v65, v65, v66
	v_and_b32_e32 v2, v4, v2
	;; [unrolled: 1-line block ×3, first 2 shown]
	v_mbcnt_lo_u32_b32 v4, v2, 0
	v_mbcnt_hi_u32_b32 v65, v3, v4
	v_cmp_ne_u64_e32 vcc, 0, v[2:3]
	v_cmp_eq_u32_e64 s[0:1], 0, v65
	s_and_b64 s[2:3], vcc, s[0:1]
	; wave barrier
	s_and_saveexec_b64 s[0:1], s[2:3]
	s_cbranch_execz .LBB15_245
; %bb.244:
	v_bcnt_u32_b32 v2, v2, 0
	v_bcnt_u32_b32 v2, v3, v2
	s_waitcnt lgkmcnt(0)
	v_add_u32_e32 v2, v63, v2
	ds_write_b32 v64, v2 offset:16
.LBB15_245:
	s_or_b64 exec, exec, s[0:1]
	v_xor_b32_e32 v39, 0x7fffffff, v39
	v_lshrrev_b32_e32 v2, s92, v39
	v_and_b32_e32 v3, s9, v2
	v_mul_lo_u32 v2, v3, 20
	v_and_b32_e32 v4, 1, v3
	; wave barrier
	v_lshl_add_u32 v67, v20, 2, v2
	v_add_co_u32_e32 v2, vcc, -1, v4
	v_addc_co_u32_e64 v68, s[0:1], 0, -1, vcc
	v_cmp_ne_u32_e32 vcc, 0, v4
	v_xor_b32_e32 v2, vcc_lo, v2
	v_xor_b32_e32 v4, vcc_hi, v68
	v_and_b32_e32 v68, exec_lo, v2
	v_lshlrev_b32_e32 v2, 30, v3
	v_cmp_gt_i64_e32 vcc, 0, v[1:2]
	v_not_b32_e32 v2, v2
	v_ashrrev_i32_e32 v2, 31, v2
	v_xor_b32_e32 v69, vcc_hi, v2
	v_xor_b32_e32 v2, vcc_lo, v2
	v_and_b32_e32 v68, v68, v2
	v_lshlrev_b32_e32 v2, 29, v3
	v_cmp_gt_i64_e32 vcc, 0, v[1:2]
	v_not_b32_e32 v2, v2
	v_and_b32_e32 v4, exec_hi, v4
	v_ashrrev_i32_e32 v2, 31, v2
	v_and_b32_e32 v4, v4, v69
	v_xor_b32_e32 v69, vcc_hi, v2
	v_xor_b32_e32 v2, vcc_lo, v2
	v_and_b32_e32 v68, v68, v2
	v_lshlrev_b32_e32 v2, 28, v3
	v_cmp_gt_i64_e32 vcc, 0, v[1:2]
	v_not_b32_e32 v2, v2
	v_ashrrev_i32_e32 v2, 31, v2
	v_and_b32_e32 v4, v4, v69
	v_xor_b32_e32 v69, vcc_hi, v2
	v_xor_b32_e32 v2, vcc_lo, v2
	v_and_b32_e32 v68, v68, v2
	v_lshlrev_b32_e32 v2, 27, v3
	v_cmp_gt_i64_e32 vcc, 0, v[1:2]
	v_not_b32_e32 v2, v2
	;; [unrolled: 8-line block ×5, first 2 shown]
	v_ashrrev_i32_e32 v1, 31, v1
	v_xor_b32_e32 v2, vcc_hi, v1
	v_xor_b32_e32 v1, vcc_lo, v1
	ds_read_b32 v66, v67 offset:16
	v_and_b32_e32 v4, v4, v69
	v_and_b32_e32 v1, v68, v1
	;; [unrolled: 1-line block ×3, first 2 shown]
	v_mbcnt_lo_u32_b32 v3, v1, 0
	v_mbcnt_hi_u32_b32 v69, v2, v3
	v_cmp_ne_u64_e32 vcc, 0, v[1:2]
	v_cmp_eq_u32_e64 s[0:1], 0, v69
	s_and_b64 s[2:3], vcc, s[0:1]
	; wave barrier
	s_and_saveexec_b64 s[0:1], s[2:3]
	s_cbranch_execz .LBB15_247
; %bb.246:
	v_bcnt_u32_b32 v1, v1, 0
	v_bcnt_u32_b32 v1, v2, v1
	s_waitcnt lgkmcnt(0)
	v_add_u32_e32 v1, v66, v1
	ds_write_b32 v67, v1 offset:16
.LBB15_247:
	s_or_b64 exec, exec, s[0:1]
	v_xor_b32_e32 v68, 0x7fffffff, v34
	v_lshrrev_b32_e32 v1, s92, v68
	v_and_b32_e32 v3, s9, v1
	v_mul_lo_u32 v1, v3, 20
	v_and_b32_e32 v2, 1, v3
	v_add_co_u32_e32 v4, vcc, -1, v2
	v_addc_co_u32_e64 v71, s[0:1], 0, -1, vcc
	v_cmp_ne_u32_e32 vcc, 0, v2
	v_xor_b32_e32 v2, vcc_hi, v71
	v_lshl_add_u32 v34, v20, 2, v1
	v_mov_b32_e32 v1, 0
	v_and_b32_e32 v71, exec_hi, v2
	v_lshlrev_b32_e32 v2, 30, v3
	v_xor_b32_e32 v4, vcc_lo, v4
	v_cmp_gt_i64_e32 vcc, 0, v[1:2]
	v_not_b32_e32 v2, v2
	v_ashrrev_i32_e32 v2, 31, v2
	v_and_b32_e32 v4, exec_lo, v4
	v_xor_b32_e32 v72, vcc_hi, v2
	v_xor_b32_e32 v2, vcc_lo, v2
	v_and_b32_e32 v4, v4, v2
	v_lshlrev_b32_e32 v2, 29, v3
	v_cmp_gt_i64_e32 vcc, 0, v[1:2]
	v_not_b32_e32 v2, v2
	v_ashrrev_i32_e32 v2, 31, v2
	v_and_b32_e32 v71, v71, v72
	v_xor_b32_e32 v72, vcc_hi, v2
	v_xor_b32_e32 v2, vcc_lo, v2
	v_and_b32_e32 v4, v4, v2
	v_lshlrev_b32_e32 v2, 28, v3
	v_cmp_gt_i64_e32 vcc, 0, v[1:2]
	v_not_b32_e32 v2, v2
	v_ashrrev_i32_e32 v2, 31, v2
	v_and_b32_e32 v71, v71, v72
	;; [unrolled: 8-line block ×5, first 2 shown]
	v_xor_b32_e32 v72, vcc_hi, v2
	v_xor_b32_e32 v2, vcc_lo, v2
	v_and_b32_e32 v4, v4, v2
	v_lshlrev_b32_e32 v2, 24, v3
	v_cmp_gt_i64_e32 vcc, 0, v[1:2]
	v_not_b32_e32 v2, v2
	v_ashrrev_i32_e32 v2, 31, v2
	v_xor_b32_e32 v3, vcc_hi, v2
	v_xor_b32_e32 v2, vcc_lo, v2
	; wave barrier
	ds_read_b32 v70, v34 offset:16
	v_and_b32_e32 v71, v71, v72
	v_and_b32_e32 v2, v4, v2
	;; [unrolled: 1-line block ×3, first 2 shown]
	v_mbcnt_lo_u32_b32 v4, v2, 0
	v_mbcnt_hi_u32_b32 v72, v3, v4
	v_cmp_ne_u64_e32 vcc, 0, v[2:3]
	v_cmp_eq_u32_e64 s[0:1], 0, v72
	s_and_b64 s[2:3], vcc, s[0:1]
	; wave barrier
	s_and_saveexec_b64 s[0:1], s[2:3]
	s_cbranch_execz .LBB15_249
; %bb.248:
	v_bcnt_u32_b32 v2, v2, 0
	v_bcnt_u32_b32 v2, v3, v2
	s_waitcnt lgkmcnt(0)
	v_add_u32_e32 v2, v70, v2
	ds_write_b32 v34, v2 offset:16
.LBB15_249:
	s_or_b64 exec, exec, s[0:1]
	v_xor_b32_e32 v71, 0x7fffffff, v29
	v_lshrrev_b32_e32 v2, s92, v71
	v_and_b32_e32 v3, s9, v2
	v_mul_lo_u32 v2, v3, 20
	v_and_b32_e32 v4, 1, v3
	; wave barrier
	v_lshl_add_u32 v29, v20, 2, v2
	v_add_co_u32_e32 v2, vcc, -1, v4
	v_addc_co_u32_e64 v74, s[0:1], 0, -1, vcc
	v_cmp_ne_u32_e32 vcc, 0, v4
	v_xor_b32_e32 v2, vcc_lo, v2
	v_xor_b32_e32 v4, vcc_hi, v74
	v_and_b32_e32 v74, exec_lo, v2
	v_lshlrev_b32_e32 v2, 30, v3
	v_cmp_gt_i64_e32 vcc, 0, v[1:2]
	v_not_b32_e32 v2, v2
	v_ashrrev_i32_e32 v2, 31, v2
	v_xor_b32_e32 v75, vcc_hi, v2
	v_xor_b32_e32 v2, vcc_lo, v2
	v_and_b32_e32 v74, v74, v2
	v_lshlrev_b32_e32 v2, 29, v3
	v_cmp_gt_i64_e32 vcc, 0, v[1:2]
	v_not_b32_e32 v2, v2
	v_and_b32_e32 v4, exec_hi, v4
	v_ashrrev_i32_e32 v2, 31, v2
	v_and_b32_e32 v4, v4, v75
	v_xor_b32_e32 v75, vcc_hi, v2
	v_xor_b32_e32 v2, vcc_lo, v2
	v_and_b32_e32 v74, v74, v2
	v_lshlrev_b32_e32 v2, 28, v3
	v_cmp_gt_i64_e32 vcc, 0, v[1:2]
	v_not_b32_e32 v2, v2
	v_ashrrev_i32_e32 v2, 31, v2
	v_and_b32_e32 v4, v4, v75
	v_xor_b32_e32 v75, vcc_hi, v2
	v_xor_b32_e32 v2, vcc_lo, v2
	v_and_b32_e32 v74, v74, v2
	v_lshlrev_b32_e32 v2, 27, v3
	v_cmp_gt_i64_e32 vcc, 0, v[1:2]
	v_not_b32_e32 v2, v2
	;; [unrolled: 8-line block ×5, first 2 shown]
	v_ashrrev_i32_e32 v1, 31, v1
	v_xor_b32_e32 v2, vcc_hi, v1
	v_xor_b32_e32 v1, vcc_lo, v1
	ds_read_b32 v73, v29 offset:16
	v_and_b32_e32 v4, v4, v75
	v_and_b32_e32 v1, v74, v1
	;; [unrolled: 1-line block ×3, first 2 shown]
	v_mbcnt_lo_u32_b32 v3, v1, 0
	v_mbcnt_hi_u32_b32 v76, v2, v3
	v_cmp_ne_u64_e32 vcc, 0, v[1:2]
	v_cmp_eq_u32_e64 s[0:1], 0, v76
	s_and_b64 s[2:3], vcc, s[0:1]
	; wave barrier
	s_and_saveexec_b64 s[0:1], s[2:3]
	s_cbranch_execz .LBB15_251
; %bb.250:
	v_bcnt_u32_b32 v1, v1, 0
	v_bcnt_u32_b32 v1, v2, v1
	s_waitcnt lgkmcnt(0)
	v_add_u32_e32 v1, v73, v1
	ds_write_b32 v29, v1 offset:16
.LBB15_251:
	s_or_b64 exec, exec, s[0:1]
	v_xor_b32_e32 v75, 0x7fffffff, v24
	v_lshrrev_b32_e32 v1, s92, v75
	v_and_b32_e32 v3, s9, v1
	v_mul_lo_u32 v1, v3, 20
	v_and_b32_e32 v2, 1, v3
	v_add_co_u32_e32 v4, vcc, -1, v2
	v_addc_co_u32_e64 v74, s[0:1], 0, -1, vcc
	v_cmp_ne_u32_e32 vcc, 0, v2
	v_xor_b32_e32 v2, vcc_hi, v74
	v_lshl_add_u32 v24, v20, 2, v1
	v_mov_b32_e32 v1, 0
	v_and_b32_e32 v74, exec_hi, v2
	v_lshlrev_b32_e32 v2, 30, v3
	v_xor_b32_e32 v4, vcc_lo, v4
	v_cmp_gt_i64_e32 vcc, 0, v[1:2]
	v_not_b32_e32 v2, v2
	v_ashrrev_i32_e32 v2, 31, v2
	v_and_b32_e32 v4, exec_lo, v4
	v_xor_b32_e32 v78, vcc_hi, v2
	v_xor_b32_e32 v2, vcc_lo, v2
	v_and_b32_e32 v4, v4, v2
	v_lshlrev_b32_e32 v2, 29, v3
	v_cmp_gt_i64_e32 vcc, 0, v[1:2]
	v_not_b32_e32 v2, v2
	v_ashrrev_i32_e32 v2, 31, v2
	v_and_b32_e32 v74, v74, v78
	v_xor_b32_e32 v78, vcc_hi, v2
	v_xor_b32_e32 v2, vcc_lo, v2
	v_and_b32_e32 v4, v4, v2
	v_lshlrev_b32_e32 v2, 28, v3
	v_cmp_gt_i64_e32 vcc, 0, v[1:2]
	v_not_b32_e32 v2, v2
	v_ashrrev_i32_e32 v2, 31, v2
	v_and_b32_e32 v74, v74, v78
	;; [unrolled: 8-line block ×5, first 2 shown]
	v_xor_b32_e32 v78, vcc_hi, v2
	v_xor_b32_e32 v2, vcc_lo, v2
	v_and_b32_e32 v4, v4, v2
	v_lshlrev_b32_e32 v2, 24, v3
	v_cmp_gt_i64_e32 vcc, 0, v[1:2]
	v_not_b32_e32 v2, v2
	v_ashrrev_i32_e32 v2, 31, v2
	v_xor_b32_e32 v3, vcc_hi, v2
	v_xor_b32_e32 v2, vcc_lo, v2
	; wave barrier
	ds_read_b32 v77, v24 offset:16
	v_and_b32_e32 v74, v74, v78
	v_and_b32_e32 v2, v4, v2
	;; [unrolled: 1-line block ×3, first 2 shown]
	v_mbcnt_lo_u32_b32 v4, v2, 0
	v_mbcnt_hi_u32_b32 v79, v3, v4
	v_cmp_ne_u64_e32 vcc, 0, v[2:3]
	v_cmp_eq_u32_e64 s[0:1], 0, v79
	s_and_b64 s[2:3], vcc, s[0:1]
	; wave barrier
	s_and_saveexec_b64 s[0:1], s[2:3]
	s_cbranch_execz .LBB15_253
; %bb.252:
	v_bcnt_u32_b32 v2, v2, 0
	v_bcnt_u32_b32 v2, v3, v2
	s_waitcnt lgkmcnt(0)
	v_add_u32_e32 v2, v77, v2
	ds_write_b32 v24, v2 offset:16
.LBB15_253:
	s_or_b64 exec, exec, s[0:1]
	v_xor_b32_e32 v78, 0x7fffffff, v18
	v_lshrrev_b32_e32 v2, s92, v78
	v_and_b32_e32 v3, s9, v2
	v_mul_lo_u32 v2, v3, 20
	v_and_b32_e32 v4, 1, v3
	; wave barrier
	v_lshl_add_u32 v18, v20, 2, v2
	v_add_co_u32_e32 v2, vcc, -1, v4
	v_addc_co_u32_e64 v20, s[0:1], 0, -1, vcc
	v_cmp_ne_u32_e32 vcc, 0, v4
	v_xor_b32_e32 v2, vcc_lo, v2
	v_xor_b32_e32 v4, vcc_hi, v20
	v_and_b32_e32 v20, exec_lo, v2
	v_lshlrev_b32_e32 v2, 30, v3
	v_cmp_gt_i64_e32 vcc, 0, v[1:2]
	v_not_b32_e32 v2, v2
	v_ashrrev_i32_e32 v2, 31, v2
	v_xor_b32_e32 v74, vcc_hi, v2
	v_xor_b32_e32 v2, vcc_lo, v2
	v_and_b32_e32 v20, v20, v2
	v_lshlrev_b32_e32 v2, 29, v3
	v_cmp_gt_i64_e32 vcc, 0, v[1:2]
	v_not_b32_e32 v2, v2
	v_and_b32_e32 v4, exec_hi, v4
	v_ashrrev_i32_e32 v2, 31, v2
	v_and_b32_e32 v4, v4, v74
	v_xor_b32_e32 v74, vcc_hi, v2
	v_xor_b32_e32 v2, vcc_lo, v2
	v_and_b32_e32 v20, v20, v2
	v_lshlrev_b32_e32 v2, 28, v3
	v_cmp_gt_i64_e32 vcc, 0, v[1:2]
	v_not_b32_e32 v2, v2
	v_ashrrev_i32_e32 v2, 31, v2
	v_and_b32_e32 v4, v4, v74
	v_xor_b32_e32 v74, vcc_hi, v2
	v_xor_b32_e32 v2, vcc_lo, v2
	v_and_b32_e32 v20, v20, v2
	v_lshlrev_b32_e32 v2, 27, v3
	v_cmp_gt_i64_e32 vcc, 0, v[1:2]
	v_not_b32_e32 v2, v2
	v_ashrrev_i32_e32 v2, 31, v2
	v_and_b32_e32 v4, v4, v74
	v_xor_b32_e32 v74, vcc_hi, v2
	v_xor_b32_e32 v2, vcc_lo, v2
	v_and_b32_e32 v20, v20, v2
	v_lshlrev_b32_e32 v2, 26, v3
	v_cmp_gt_i64_e32 vcc, 0, v[1:2]
	v_not_b32_e32 v2, v2
	v_ashrrev_i32_e32 v2, 31, v2
	v_and_b32_e32 v4, v4, v74
	v_xor_b32_e32 v74, vcc_hi, v2
	v_xor_b32_e32 v2, vcc_lo, v2
	v_and_b32_e32 v20, v20, v2
	v_lshlrev_b32_e32 v2, 25, v3
	v_cmp_gt_i64_e32 vcc, 0, v[1:2]
	v_not_b32_e32 v2, v2
	v_ashrrev_i32_e32 v2, 31, v2
	v_and_b32_e32 v4, v4, v74
	v_xor_b32_e32 v74, vcc_hi, v2
	v_xor_b32_e32 v2, vcc_lo, v2
	v_and_b32_e32 v20, v20, v2
	v_lshlrev_b32_e32 v2, 24, v3
	v_cmp_gt_i64_e32 vcc, 0, v[1:2]
	v_not_b32_e32 v1, v2
	v_ashrrev_i32_e32 v1, 31, v1
	v_xor_b32_e32 v2, vcc_hi, v1
	v_xor_b32_e32 v1, vcc_lo, v1
	ds_read_b32 v80, v18 offset:16
	v_and_b32_e32 v4, v4, v74
	v_and_b32_e32 v1, v20, v1
	;; [unrolled: 1-line block ×3, first 2 shown]
	v_mbcnt_lo_u32_b32 v3, v1, 0
	v_mbcnt_hi_u32_b32 v81, v2, v3
	v_cmp_ne_u64_e32 vcc, 0, v[1:2]
	v_cmp_eq_u32_e64 s[0:1], 0, v81
	s_and_b64 s[2:3], vcc, s[0:1]
	; wave barrier
	s_and_saveexec_b64 s[0:1], s[2:3]
	s_cbranch_execz .LBB15_255
; %bb.254:
	v_bcnt_u32_b32 v1, v1, 0
	v_bcnt_u32_b32 v1, v2, v1
	s_waitcnt lgkmcnt(0)
	v_add_u32_e32 v1, v80, v1
	ds_write_b32 v18, v1 offset:16
.LBB15_255:
	s_or_b64 exec, exec, s[0:1]
	; wave barrier
	s_waitcnt lgkmcnt(0)
	s_barrier
	ds_read2_b32 v[3:4], v6 offset0:4 offset1:5
	ds_read2_b32 v[1:2], v6 offset0:6 offset1:7
	ds_read_b32 v20, v6 offset:32
	v_min_u32_e32 v9, 0xc0, v9
	v_or_b32_e32 v9, 63, v9
	s_waitcnt lgkmcnt(1)
	v_add3_u32 v74, v4, v3, v1
	s_waitcnt lgkmcnt(0)
	v_add3_u32 v20, v74, v2, v20
	v_and_b32_e32 v74, 15, v8
	v_cmp_ne_u32_e32 vcc, 0, v74
	v_mov_b32_dpp v82, v20 row_shr:1 row_mask:0xf bank_mask:0xf
	v_cndmask_b32_e32 v82, 0, v82, vcc
	v_add_u32_e32 v20, v82, v20
	v_cmp_lt_u32_e32 vcc, 1, v74
	s_nop 0
	v_mov_b32_dpp v82, v20 row_shr:2 row_mask:0xf bank_mask:0xf
	v_cndmask_b32_e32 v82, 0, v82, vcc
	v_add_u32_e32 v20, v20, v82
	v_cmp_lt_u32_e32 vcc, 3, v74
	s_nop 0
	;; [unrolled: 5-line block ×3, first 2 shown]
	v_mov_b32_dpp v82, v20 row_shr:8 row_mask:0xf bank_mask:0xf
	v_cndmask_b32_e32 v74, 0, v82, vcc
	v_add_u32_e32 v20, v20, v74
	v_bfe_i32 v82, v8, 4, 1
	v_cmp_lt_u32_e32 vcc, 31, v8
	v_mov_b32_dpp v74, v20 row_bcast:15 row_mask:0xf bank_mask:0xf
	v_and_b32_e32 v74, v82, v74
	v_add_u32_e32 v20, v20, v74
	v_lshrrev_b32_e32 v82, 6, v0
	s_nop 0
	v_mov_b32_dpp v74, v20 row_bcast:31 row_mask:0xf bank_mask:0xf
	v_cndmask_b32_e32 v74, 0, v74, vcc
	v_add_u32_e32 v20, v20, v74
	v_cmp_eq_u32_e32 vcc, v0, v9
	s_and_saveexec_b64 s[0:1], vcc
; %bb.256:
	v_lshlrev_b32_e32 v9, 2, v82
	ds_write_b32 v9, v20
; %bb.257:
	s_or_b64 exec, exec, s[0:1]
	v_cmp_gt_u32_e32 vcc, 4, v0
	v_lshlrev_b32_e32 v74, 2, v0
	s_waitcnt lgkmcnt(0)
	s_barrier
	s_and_saveexec_b64 s[0:1], vcc
	s_cbranch_execz .LBB15_259
; %bb.258:
	ds_read_b32 v9, v74
	v_and_b32_e32 v83, 3, v8
	v_cmp_ne_u32_e32 vcc, 0, v83
	s_waitcnt lgkmcnt(0)
	v_mov_b32_dpp v84, v9 row_shr:1 row_mask:0xf bank_mask:0xf
	v_cndmask_b32_e32 v84, 0, v84, vcc
	v_add_u32_e32 v9, v84, v9
	v_cmp_lt_u32_e32 vcc, 1, v83
	s_nop 0
	v_mov_b32_dpp v84, v9 row_shr:2 row_mask:0xf bank_mask:0xf
	v_cndmask_b32_e32 v83, 0, v84, vcc
	v_add_u32_e32 v9, v9, v83
	ds_write_b32 v74, v9
.LBB15_259:
	s_or_b64 exec, exec, s[0:1]
	v_cmp_lt_u32_e32 vcc, 63, v0
	v_mov_b32_e32 v9, 0
	s_waitcnt lgkmcnt(0)
	s_barrier
	s_and_saveexec_b64 s[0:1], vcc
; %bb.260:
	v_lshl_add_u32 v9, v82, 2, -4
	ds_read_b32 v9, v9
; %bb.261:
	s_or_b64 exec, exec, s[0:1]
	v_add_u32_e32 v82, -1, v8
	v_and_b32_e32 v83, 64, v8
	v_cmp_lt_i32_e32 vcc, v82, v83
	v_cndmask_b32_e32 v82, v82, v8, vcc
	s_waitcnt lgkmcnt(0)
	v_add_u32_e32 v20, v9, v20
	v_lshlrev_b32_e32 v82, 2, v82
	ds_bpermute_b32 v20, v82, v20
	v_cmp_eq_u32_e32 vcc, 0, v8
	s_movk_i32 s0, 0x100
	s_waitcnt lgkmcnt(0)
	v_cndmask_b32_e32 v9, v20, v9, vcc
	v_cmp_ne_u32_e32 vcc, 0, v0
	v_cndmask_b32_e32 v9, 0, v9, vcc
	v_add_u32_e32 v3, v9, v3
	v_add_u32_e32 v4, v3, v4
	;; [unrolled: 1-line block ×4, first 2 shown]
	ds_write2_b32 v6, v9, v3 offset0:4 offset1:5
	ds_write2_b32 v6, v4, v1 offset0:6 offset1:7
	ds_write_b32 v6, v2 offset:32
	s_waitcnt lgkmcnt(0)
	s_barrier
	ds_read_b32 v2, v45 offset:16
	ds_read_b32 v3, v50 offset:16
	;; [unrolled: 1-line block ×19, first 2 shown]
	v_add_u32_e32 v6, 1, v0
	v_cmp_ne_u32_e32 vcc, s0, v6
	v_mov_b32_e32 v1, 0x1200
	s_and_saveexec_b64 s[0:1], vcc
; %bb.262:
	v_mul_u32_u24_e32 v1, 20, v6
	ds_read_b32 v1, v1 offset:16
; %bb.263:
	s_or_b64 exec, exec, s[0:1]
	s_waitcnt lgkmcnt(7)
	v_add_u32_e32 v35, v10, v12
	s_waitcnt lgkmcnt(6)
	v_add3_u32 v34, v16, v13, v14
	s_waitcnt lgkmcnt(3)
	v_add3_u32 v28, v32, v28, v24
	v_add3_u32 v24, v47, v43, v2
	v_lshlrev_b32_e32 v2, 2, v35
	v_add3_u32 v30, v22, v17, v18
	s_waitcnt lgkmcnt(0)
	s_barrier
	ds_write_b32 v2, v5 offset:2048
	v_lshlrev_b32_e32 v2, 2, v34
	v_add3_u32 v29, v27, v23, v19
	ds_write_b32 v2, v11 offset:2048
	v_lshlrev_b32_e32 v2, 2, v30
	ds_write_b32 v2, v15 offset:2048
	v_lshlrev_b32_e32 v2, 2, v29
	v_add3_u32 v27, v37, v33, v25
	ds_write_b32 v2, v21 offset:2048
	v_lshlrev_b32_e32 v2, 2, v28
	v_add3_u32 v25, v42, v38, v40
	ds_write_b32 v2, v26 offset:2048
	v_lshlrev_b32_e32 v2, 2, v27
	ds_write_b32 v2, v31 offset:2048
	v_lshlrev_b32_e32 v2, 2, v25
	v_add3_u32 v23, v52, v48, v3
	ds_write_b32 v2, v36 offset:2048
	v_lshlrev_b32_e32 v2, 2, v24
	v_add3_u32 v22, v56, v53, v4
	;; [unrolled: 3-line block ×10, first 2 shown]
	ds_write_b32 v2, v71 offset:2048
	v_lshlrev_b32_e32 v2, 2, v13
	ds_write_b32 v2, v75 offset:2048
	v_lshlrev_b32_e32 v2, 2, v12
	ds_write_b32 v2, v78 offset:2048
	v_sub_u32_e32 v10, v1, v9
	v_lshl_or_b32 v1, s6, 8, v0
	v_mov_b32_e32 v2, 0
	v_lshlrev_b64 v[3:4], 2, v[1:2]
	v_mov_b32_e32 v15, s89
	v_add_co_u32_e32 v3, vcc, s88, v3
	v_addc_co_u32_e32 v4, vcc, v15, v4, vcc
	v_or_b32_e32 v1, 2.0, v10
	s_mov_b64 s[0:1], 0
	s_brev_b32 s10, -4
	v_mov_b32_e32 v11, 0
	s_waitcnt lgkmcnt(0)
	s_barrier
	global_store_dword v[3:4], v1, off
                                        ; implicit-def: $sgpr2_sgpr3
	s_branch .LBB15_266
.LBB15_264:                             ;   in Loop: Header=BB15_266 Depth=1
	s_or_b64 exec, exec, s[4:5]
.LBB15_265:                             ;   in Loop: Header=BB15_266 Depth=1
	s_or_b64 exec, exec, s[2:3]
	v_and_b32_e32 v5, 0x3fffffff, v1
	v_add_u32_e32 v11, v5, v11
	v_cmp_gt_i32_e64 s[2:3], -2.0, v1
	s_and_b64 s[4:5], exec, s[2:3]
	s_or_b64 s[0:1], s[4:5], s[0:1]
	s_andn2_b64 exec, exec, s[0:1]
	s_cbranch_execz .LBB15_271
.LBB15_266:                             ; =>This Loop Header: Depth=1
                                        ;     Child Loop BB15_269 Depth 2
	s_or_b64 s[2:3], s[2:3], exec
	s_cmp_eq_u32 s7, 0
	s_cbranch_scc1 .LBB15_270
; %bb.267:                              ;   in Loop: Header=BB15_266 Depth=1
	s_add_i32 s7, s7, -1
	v_lshl_or_b32 v1, s7, 8, v0
	v_lshlrev_b64 v[5:6], 2, v[1:2]
	v_add_co_u32_e32 v5, vcc, s88, v5
	v_addc_co_u32_e32 v6, vcc, v15, v6, vcc
	global_load_dword v1, v[5:6], off glc
	s_waitcnt vmcnt(0)
	v_cmp_gt_u32_e32 vcc, 2.0, v1
	s_and_saveexec_b64 s[2:3], vcc
	s_cbranch_execz .LBB15_265
; %bb.268:                              ;   in Loop: Header=BB15_266 Depth=1
	s_mov_b64 s[4:5], 0
.LBB15_269:                             ;   Parent Loop BB15_266 Depth=1
                                        ; =>  This Inner Loop Header: Depth=2
	global_load_dword v1, v[5:6], off glc
	s_waitcnt vmcnt(0)
	v_cmp_lt_u32_e32 vcc, s10, v1
	s_or_b64 s[4:5], vcc, s[4:5]
	s_andn2_b64 exec, exec, s[4:5]
	s_cbranch_execnz .LBB15_269
	s_branch .LBB15_264
.LBB15_270:                             ;   in Loop: Header=BB15_266 Depth=1
                                        ; implicit-def: $sgpr7
	s_and_b64 s[4:5], exec, s[2:3]
	s_or_b64 s[0:1], s[4:5], s[0:1]
	s_andn2_b64 exec, exec, s[0:1]
	s_cbranch_execnz .LBB15_266
.LBB15_271:
	s_or_b64 exec, exec, s[0:1]
	v_add_u32_e32 v2, v11, v10
	v_or_b32_e32 v2, 0x80000000, v2
	v_readlane_b32 s0, v88, 0
	v_lshlrev_b32_e32 v1, 3, v0
	global_store_dword v[3:4], v2, off
	v_readlane_b32 s1, v88, 1
	v_sub_co_u32_e32 v4, vcc, v11, v9
	v_sub_u32_e32 v51, v1, v74
	v_mov_b32_e32 v6, s83
	v_mov_b32_e32 v11, s83
	s_nop 0
	global_load_dwordx2 v[2:3], v1, s[0:1]
	v_subb_co_u32_e64 v5, s[0:1], 0, 0, vcc
	v_mov_b32_e32 v15, s83
	v_mov_b32_e32 v21, s83
	;; [unrolled: 1-line block ×3, first 2 shown]
	s_lshl_b64 s[0:1], s[78:79], 1
	s_add_u32 s0, s84, s0
	s_addc_u32 s1, s85, s1
	v_lshlrev_b32_e32 v8, 1, v8
	v_lshlrev_b32_e32 v7, 1, v7
	v_or_b32_e32 v62, 0xf00, v0
	v_lshlrev_b32_e32 v70, 2, v62
	v_mov_b32_e32 v73, s83
	s_add_i32 s8, s8, -1
	v_readlane_b32 s2, v88, 2
	v_readlane_b32 s3, v88, 3
	s_cmp_lg_u32 s6, s8
	s_waitcnt vmcnt(0)
	v_add_co_u32_e32 v2, vcc, v4, v2
	v_addc_co_u32_e32 v3, vcc, v5, v3, vcc
	ds_write_b64 v1, v[2:3]
	s_waitcnt lgkmcnt(0)
	s_barrier
	ds_read2st64_b32 v[2:3], v51 offset0:8 offset1:12
	ds_read2st64_b32 v[4:5], v51 offset0:16 offset1:20
	;; [unrolled: 1-line block ×4, first 2 shown]
	s_waitcnt lgkmcnt(2)
	v_xor_b32_e32 v49, 0x7fffffff, v4
	v_lshrrev_b32_e32 v26, s92, v2
	v_xor_b32_e32 v33, 0x7fffffff, v2
	v_lshrrev_b32_e32 v2, s92, v3
	;; [unrolled: 2-line block ×3, first 2 shown]
	v_lshrrev_b32_e32 v4, s92, v5
	v_xor_b32_e32 v50, 0x7fffffff, v5
	s_waitcnt lgkmcnt(1)
	v_lshrrev_b32_e32 v5, s92, v31
	v_lshrrev_b32_e32 v38, s92, v32
	s_waitcnt lgkmcnt(0)
	v_lshrrev_b32_e32 v39, s92, v36
	v_lshrrev_b32_e32 v40, s92, v37
	v_and_b32_e32 v26, s9, v26
	v_and_b32_e32 v2, s9, v2
	;; [unrolled: 1-line block ×8, first 2 shown]
	v_lshlrev_b32_e32 v52, 3, v26
	v_lshlrev_b32_e32 v53, 3, v2
	;; [unrolled: 1-line block ×8, first 2 shown]
	ds_read_b64 v[38:39], v52
	ds_read_b64 v[40:41], v53
	;; [unrolled: 1-line block ×5, first 2 shown]
	s_waitcnt lgkmcnt(4)
	v_lshlrev_b64 v[38:39], 2, v[38:39]
	s_waitcnt lgkmcnt(3)
	v_lshlrev_b64 v[40:41], 2, v[40:41]
	v_add_co_u32_e32 v26, vcc, s82, v38
	v_addc_co_u32_e32 v6, vcc, v6, v39, vcc
	s_waitcnt lgkmcnt(2)
	v_lshlrev_b64 v[42:43], 2, v[42:43]
	v_add_co_u32_e32 v40, vcc, s82, v40
	v_addc_co_u32_e32 v11, vcc, v11, v41, vcc
	;; [unrolled: 4-line block ×3, first 2 shown]
	v_add_co_u32_e32 v44, vcc, s82, v44
	v_addc_co_u32_e32 v21, vcc, v21, v45, vcc
	v_add_co_u32_e32 v38, vcc, v26, v74
	v_addc_co_u32_e32 v39, vcc, 0, v6, vcc
	;; [unrolled: 2-line block ×5, first 2 shown]
	global_store_dword v[38:39], v33, off
	global_store_dword v[40:41], v48, off offset:1024
	global_store_dword v[42:43], v49, off offset:2048
	;; [unrolled: 1-line block ×3, first 2 shown]
	s_waitcnt lgkmcnt(0)
	v_lshlrev_b64 v[44:45], 2, v[46:47]
	v_mov_b32_e32 v6, s83
	v_add_co_u32_e32 v11, vcc, s82, v44
	ds_read_b64 v[38:39], v2
	ds_read_b64 v[40:41], v3
	;; [unrolled: 1-line block ×3, first 2 shown]
	v_addc_co_u32_e32 v6, vcc, v6, v45, vcc
	v_or_b32_e32 v15, 0x1000, v74
	v_add_co_u32_e32 v44, vcc, v11, v15
	v_xor_b32_e32 v31, 0x7fffffff, v31
	v_addc_co_u32_e32 v45, vcc, 0, v6, vcc
	global_store_dword v[44:45], v31, off
	v_xor_b32_e32 v6, 0x7fffffff, v32
	s_waitcnt lgkmcnt(2)
	v_lshlrev_b64 v[31:32], 2, v[38:39]
	v_mov_b32_e32 v11, s83
	v_add_co_u32_e32 v15, vcc, s82, v31
	v_addc_co_u32_e32 v11, vcc, v11, v32, vcc
	v_or_b32_e32 v21, 0x1400, v74
	v_add_co_u32_e32 v31, vcc, v15, v21
	v_addc_co_u32_e32 v32, vcc, 0, v11, vcc
	global_store_dword v[31:32], v6, off
	s_waitcnt lgkmcnt(1)
	v_lshlrev_b64 v[31:32], 2, v[40:41]
	v_mov_b32_e32 v11, s83
	v_add_co_u32_e32 v15, vcc, s82, v31
	v_addc_co_u32_e32 v11, vcc, v11, v32, vcc
	v_or_b32_e32 v21, 0x1800, v74
	v_add_co_u32_e32 v31, vcc, v15, v21
	v_xor_b32_e32 v6, 0x7fffffff, v36
	v_addc_co_u32_e32 v32, vcc, 0, v11, vcc
	global_store_dword v[31:32], v6, off
	s_waitcnt lgkmcnt(0)
	v_lshlrev_b64 v[31:32], 2, v[42:43]
	v_mov_b32_e32 v11, s83
	v_add_co_u32_e32 v15, vcc, s82, v31
	v_addc_co_u32_e32 v11, vcc, v11, v32, vcc
	ds_read2st64_b32 v[32:33], v51 offset0:40 offset1:44
	v_or_b32_e32 v21, 0x1c00, v74
	v_add_co_u32_e32 v36, vcc, v15, v21
	v_xor_b32_e32 v6, 0x7fffffff, v37
	v_addc_co_u32_e32 v37, vcc, 0, v11, vcc
	s_waitcnt lgkmcnt(0)
	v_lshrrev_b32_e32 v11, s92, v32
	global_store_dword v[36:37], v6, off
	v_and_b32_e32 v11, s9, v11
	v_lshlrev_b32_e32 v11, 3, v11
	ds_read2st64_b32 v[36:37], v51 offset0:48 offset1:52
	ds_read_b64 v[38:39], v11
	v_lshrrev_b32_e32 v15, s92, v33
	v_and_b32_e32 v15, s9, v15
	v_or_b32_e32 v6, 0x800, v0
	s_waitcnt lgkmcnt(1)
	v_lshrrev_b32_e32 v31, s92, v37
	s_waitcnt lgkmcnt(0)
	v_lshlrev_b64 v[38:39], 2, v[38:39]
	v_lshrrev_b32_e32 v21, s92, v36
	v_and_b32_e32 v31, s9, v31
	v_xor_b32_e32 v26, 0x7fffffff, v32
	v_lshlrev_b32_e32 v15, 3, v15
	v_and_b32_e32 v21, s9, v21
	v_lshlrev_b32_e32 v32, 3, v31
	v_mov_b32_e32 v31, s83
	v_add_co_u32_e32 v38, vcc, s82, v38
	v_lshlrev_b32_e32 v21, 3, v21
	ds_read_b64 v[40:41], v15
	ds_read_b64 v[42:43], v21
	;; [unrolled: 1-line block ×3, first 2 shown]
	v_addc_co_u32_e32 v31, vcc, v31, v39, vcc
	v_lshlrev_b32_e32 v39, 2, v6
	v_add_co_u32_e32 v38, vcc, v38, v39
	v_addc_co_u32_e32 v39, vcc, 0, v31, vcc
	global_store_dword v[38:39], v26, off
	s_waitcnt lgkmcnt(2)
	v_lshlrev_b64 v[38:39], 2, v[40:41]
	v_or_b32_e32 v31, 0x900, v0
	v_xor_b32_e32 v26, 0x7fffffff, v33
	v_mov_b32_e32 v33, s83
	v_add_co_u32_e32 v38, vcc, s82, v38
	v_addc_co_u32_e32 v33, vcc, v33, v39, vcc
	v_lshlrev_b32_e32 v39, 2, v31
	v_add_co_u32_e32 v38, vcc, v38, v39
	v_addc_co_u32_e32 v39, vcc, 0, v33, vcc
	global_store_dword v[38:39], v26, off
	s_waitcnt lgkmcnt(1)
	v_lshlrev_b64 v[38:39], 2, v[42:43]
	v_or_b32_e32 v33, 0xa00, v0
	v_xor_b32_e32 v26, 0x7fffffff, v36
	v_mov_b32_e32 v36, s83
	v_add_co_u32_e32 v38, vcc, s82, v38
	v_addc_co_u32_e32 v36, vcc, v36, v39, vcc
	v_lshlrev_b32_e32 v39, 2, v33
	v_add_co_u32_e32 v38, vcc, v38, v39
	v_addc_co_u32_e32 v39, vcc, 0, v36, vcc
	global_store_dword v[38:39], v26, off
	v_xor_b32_e32 v38, 0x7fffffff, v37
	s_waitcnt lgkmcnt(0)
	v_lshlrev_b64 v[36:37], 2, v[44:45]
	v_mov_b32_e32 v39, s83
	v_add_co_u32_e32 v36, vcc, s82, v36
	v_addc_co_u32_e32 v37, vcc, v39, v37, vcc
	ds_read2st64_b32 v[39:40], v51 offset0:56 offset1:60
	v_or_b32_e32 v26, 0xb00, v0
	v_lshlrev_b32_e32 v41, 2, v26
	v_add_co_u32_e32 v36, vcc, v36, v41
	v_addc_co_u32_e32 v37, vcc, 0, v37, vcc
	global_store_dword v[36:37], v38, off
	s_waitcnt lgkmcnt(0)
	v_lshrrev_b32_e32 v37, s92, v39
	v_and_b32_e32 v37, s9, v37
	v_lshlrev_b32_e32 v37, 3, v37
	ds_read2st64_b32 v[41:42], v51 offset0:64 offset1:68
	ds_read_b64 v[43:44], v37
	v_lshrrev_b32_e32 v38, s92, v40
	v_xor_b32_e32 v56, 0x7fffffff, v39
	v_and_b32_e32 v38, s9, v38
	s_waitcnt lgkmcnt(1)
	v_lshrrev_b32_e32 v39, s92, v41
	s_waitcnt lgkmcnt(0)
	v_lshlrev_b64 v[43:44], 2, v[43:44]
	v_lshrrev_b32_e32 v45, s92, v42
	v_or_b32_e32 v36, 0xc00, v0
	v_lshlrev_b32_e32 v38, 3, v38
	v_and_b32_e32 v39, s9, v39
	v_and_b32_e32 v45, s9, v45
	v_add_co_u32_e32 v43, vcc, s82, v43
	v_lshlrev_b32_e32 v39, 3, v39
	v_lshlrev_b32_e32 v57, 3, v45
	ds_read_b64 v[45:46], v38
	ds_read_b64 v[47:48], v39
	;; [unrolled: 1-line block ×3, first 2 shown]
	v_addc_co_u32_e32 v44, vcc, v58, v44, vcc
	v_lshlrev_b32_e32 v58, 2, v36
	v_add_co_u32_e32 v43, vcc, v43, v58
	v_addc_co_u32_e32 v44, vcc, 0, v44, vcc
	global_store_dword v[43:44], v56, off
	s_waitcnt lgkmcnt(2)
	v_lshlrev_b64 v[43:44], 2, v[45:46]
	v_or_b32_e32 v56, 0xd00, v0
	v_mov_b32_e32 v45, s83
	v_add_co_u32_e32 v43, vcc, s82, v43
	v_addc_co_u32_e32 v44, vcc, v45, v44, vcc
	v_lshlrev_b32_e32 v45, 2, v56
	v_add_co_u32_e32 v43, vcc, v43, v45
	v_addc_co_u32_e32 v44, vcc, 0, v44, vcc
	v_mov_b32_e32 v46, s1
	v_add_co_u32_e32 v8, vcc, s0, v8
	v_xor_b32_e32 v40, 0x7fffffff, v40
	v_addc_co_u32_e32 v46, vcc, 0, v46, vcc
	global_store_dword v[43:44], v40, off
	v_xor_b32_e32 v43, 0x7fffffff, v41
	s_waitcnt lgkmcnt(1)
	v_lshlrev_b64 v[40:41], 2, v[47:48]
	v_add_co_u32_e32 v7, vcc, v8, v7
	v_addc_co_u32_e32 v8, vcc, 0, v46, vcc
	v_mov_b32_e32 v45, s83
	global_load_ushort v46, v[7:8], off
	v_add_co_u32_e32 v40, vcc, s82, v40
	v_addc_co_u32_e32 v41, vcc, v45, v41, vcc
	global_load_ushort v45, v[7:8], off offset:128
	v_or_b32_e32 v44, 0xe00, v0
	v_lshlrev_b32_e32 v47, 2, v44
	global_load_ushort v48, v[7:8], off offset:256
	global_load_ushort v58, v[7:8], off offset:384
	;; [unrolled: 1-line block ×4, first 2 shown]
	v_add_co_u32_e32 v40, vcc, v40, v47
	global_load_ushort v47, v[7:8], off offset:768
	global_load_ushort v61, v[7:8], off offset:896
	global_load_ushort v63, v[7:8], off offset:1024
	global_load_ushort v64, v[7:8], off offset:1152
	v_addc_co_u32_e32 v41, vcc, 0, v41, vcc
	global_store_dword v[40:41], v43, off
	s_waitcnt lgkmcnt(0)
	v_lshlrev_b64 v[40:41], 2, v[49:50]
	global_load_ushort v49, v[7:8], off offset:1280
	global_load_ushort v50, v[7:8], off offset:1408
	;; [unrolled: 1-line block ×7, first 2 shown]
	v_mov_b32_e32 v43, s83
	v_add_co_u32_e32 v68, vcc, s82, v40
	v_addc_co_u32_e32 v43, vcc, v43, v41, vcc
	ds_read2st64_b32 v[40:41], v51 offset0:72 offset1:76
	global_load_ushort v51, v[7:8], off offset:2176
	v_add_co_u32_e32 v7, vcc, v68, v70
	v_xor_b32_e32 v42, 0x7fffffff, v42
	v_addc_co_u32_e32 v8, vcc, 0, v43, vcc
	global_store_dword v[7:8], v42, off
	s_waitcnt lgkmcnt(0)
	v_lshrrev_b32_e32 v7, s92, v40
	v_and_b32_e32 v7, s9, v7
	v_lshlrev_b32_e32 v70, 3, v7
	ds_read_b64 v[7:8], v70
	v_lshrrev_b32_e32 v42, s92, v41
	v_and_b32_e32 v42, s9, v42
	v_lshlrev_b32_e32 v72, 3, v42
	ds_read_b64 v[42:43], v72
	s_waitcnt lgkmcnt(1)
	v_lshlrev_b64 v[7:8], 2, v[7:8]
	v_or_b32_e32 v68, 0x1000, v0
	v_add_co_u32_e32 v7, vcc, s82, v7
	v_addc_co_u32_e32 v8, vcc, v73, v8, vcc
	v_lshlrev_b32_e32 v73, 2, v68
	v_add_co_u32_e32 v7, vcc, v7, v73
	v_xor_b32_e32 v40, 0x7fffffff, v40
	v_addc_co_u32_e32 v8, vcc, 0, v8, vcc
	global_store_dword v[7:8], v40, off
	s_waitcnt lgkmcnt(0)
	v_lshlrev_b64 v[7:8], 2, v[42:43]
	v_or_b32_e32 v40, 0x1100, v0
	v_mov_b32_e32 v42, s83
	v_add_co_u32_e32 v7, vcc, s82, v7
	v_addc_co_u32_e32 v8, vcc, v42, v8, vcc
	v_lshlrev_b32_e32 v42, 2, v40
	v_add_co_u32_e32 v7, vcc, v7, v42
	v_xor_b32_e32 v41, 0x7fffffff, v41
	v_addc_co_u32_e32 v8, vcc, 0, v8, vcc
	global_store_dword v[7:8], v41, off
	v_lshlrev_b32_e32 v7, 1, v35
	s_waitcnt vmcnt(0)
	s_barrier
	v_lshlrev_b32_e32 v0, 1, v0
	v_lshlrev_b32_e32 v6, 1, v6
	ds_write_b16 v7, v46 offset:2048
	v_lshlrev_b32_e32 v7, 1, v34
	ds_write_b16 v7, v45 offset:2048
	;; [unrolled: 2-line block ×18, first 2 shown]
	s_waitcnt lgkmcnt(0)
	s_barrier
	ds_read_b64 v[7:8], v52
	ds_read_u16 v14, v0 offset:2048
	ds_read_b64 v[12:13], v53
	ds_read_b64 v[16:17], v54
	;; [unrolled: 1-line block ×3, first 2 shown]
	s_waitcnt lgkmcnt(4)
	v_lshlrev_b64 v[7:8], 1, v[7:8]
	v_mov_b32_e32 v20, s87
	v_add_co_u32_e32 v7, vcc, s86, v7
	v_addc_co_u32_e32 v8, vcc, v20, v8, vcc
	v_add_co_u32_e32 v7, vcc, v7, v0
	v_addc_co_u32_e32 v8, vcc, 0, v8, vcc
	ds_read_u16 v20, v0 offset:2560
	ds_read_b64 v[22:23], v70
	ds_read_b64 v[24:25], v72
	s_waitcnt lgkmcnt(6)
	global_store_short v[7:8], v14, off
	s_waitcnt lgkmcnt(5)
	v_lshlrev_b64 v[7:8], 1, v[12:13]
	v_mov_b32_e32 v12, s87
	v_add_co_u32_e32 v7, vcc, s86, v7
	v_addc_co_u32_e32 v8, vcc, v12, v8, vcc
	v_add_co_u32_e32 v7, vcc, v7, v0
	v_addc_co_u32_e32 v8, vcc, 0, v8, vcc
	s_waitcnt lgkmcnt(2)
	global_store_short v[7:8], v20, off offset:512
	v_lshlrev_b64 v[7:8], 1, v[16:17]
	v_add_co_u32_e32 v7, vcc, s86, v7
	v_addc_co_u32_e32 v8, vcc, v12, v8, vcc
	v_add_co_u32_e32 v7, vcc, v7, v0
	v_addc_co_u32_e32 v8, vcc, 0, v8, vcc
	ds_read_u16 v12, v0 offset:3072
	ds_read_u16 v14, v0 offset:3584
	;; [unrolled: 1-line block ×8, first 2 shown]
	s_waitcnt lgkmcnt(7)
	global_store_short v[7:8], v12, off offset:1024
	v_lshlrev_b64 v[7:8], 1, v[18:19]
	v_mov_b32_e32 v12, s87
	v_add_co_u32_e32 v7, vcc, s86, v7
	v_addc_co_u32_e32 v8, vcc, v12, v8, vcc
	ds_read_b64 v[12:13], v4
	v_add_co_u32_e32 v7, vcc, v7, v0
	v_addc_co_u32_e32 v8, vcc, 0, v8, vcc
	s_waitcnt lgkmcnt(7)
	global_store_short v[7:8], v14, off offset:1536
	s_waitcnt lgkmcnt(0)
	v_lshlrev_b64 v[12:13], 1, v[12:13]
	ds_read_b64 v[7:8], v2
	ds_read_b64 v[2:3], v3
	;; [unrolled: 1-line block ×3, first 2 shown]
	v_mov_b32_e32 v14, s87
	v_add_co_u32_e32 v12, vcc, s86, v12
	v_addc_co_u32_e32 v13, vcc, v14, v13, vcc
	v_add_co_u32_e32 v12, vcc, v12, v0
	s_waitcnt lgkmcnt(2)
	v_lshlrev_b64 v[7:8], 1, v[7:8]
	v_addc_co_u32_e32 v13, vcc, 0, v13, vcc
	global_store_short v[12:13], v16, off offset:2048
	v_mov_b32_e32 v12, s87
	v_add_co_u32_e32 v7, vcc, s86, v7
	v_addc_co_u32_e32 v8, vcc, v12, v8, vcc
	v_add_co_u32_e32 v7, vcc, v7, v0
	s_waitcnt lgkmcnt(1)
	v_lshlrev_b64 v[2:3], 1, v[2:3]
	v_addc_co_u32_e32 v8, vcc, 0, v8, vcc
	global_store_short v[7:8], v17, off offset:2560
	v_mov_b32_e32 v7, s87
	v_add_co_u32_e32 v2, vcc, s86, v2
	v_addc_co_u32_e32 v3, vcc, v7, v3, vcc
	v_add_co_u32_e32 v2, vcc, v2, v0
	v_addc_co_u32_e32 v3, vcc, 0, v3, vcc
	global_store_short v[2:3], v20, off offset:3072
	s_waitcnt lgkmcnt(0)
	v_lshlrev_b64 v[2:3], 1, v[4:5]
	v_mov_b32_e32 v4, s87
	v_add_co_u32_e32 v2, vcc, s86, v2
	v_addc_co_u32_e32 v3, vcc, v4, v3, vcc
	ds_read_b64 v[4:5], v11
	v_add_co_u32_e32 v2, vcc, v2, v0
	v_addc_co_u32_e32 v3, vcc, 0, v3, vcc
	global_store_short v[2:3], v27, off offset:3584
	s_waitcnt lgkmcnt(0)
	v_lshlrev_b64 v[4:5], 1, v[4:5]
	ds_read_b64 v[2:3], v15
	ds_read_b64 v[7:8], v21
	;; [unrolled: 1-line block ×3, first 2 shown]
	v_mov_b32_e32 v13, s87
	v_add_co_u32_e32 v4, vcc, s86, v4
	v_addc_co_u32_e32 v5, vcc, v13, v5, vcc
	v_add_co_u32_e32 v4, vcc, v4, v6
	s_waitcnt lgkmcnt(2)
	v_lshlrev_b64 v[2:3], 1, v[2:3]
	v_addc_co_u32_e32 v5, vcc, 0, v5, vcc
	global_store_short v[4:5], v28, off
	v_mov_b32_e32 v4, s87
	v_add_co_u32_e32 v2, vcc, s86, v2
	v_addc_co_u32_e32 v3, vcc, v4, v3, vcc
	v_lshlrev_b32_e32 v4, 1, v31
	v_add_co_u32_e32 v2, vcc, v2, v4
	v_addc_co_u32_e32 v3, vcc, 0, v3, vcc
	global_store_short v[2:3], v29, off
	s_waitcnt lgkmcnt(1)
	v_lshlrev_b64 v[2:3], 1, v[7:8]
	v_mov_b32_e32 v4, s87
	v_add_co_u32_e32 v2, vcc, s86, v2
	v_addc_co_u32_e32 v3, vcc, v4, v3, vcc
	v_lshlrev_b32_e32 v4, 1, v33
	v_add_co_u32_e32 v2, vcc, v2, v4
	v_addc_co_u32_e32 v3, vcc, 0, v3, vcc
	ds_read_u16 v4, v0 offset:7168
	ds_read_u16 v6, v0 offset:7680
	;; [unrolled: 1-line block ×8, first 2 shown]
	s_waitcnt lgkmcnt(7)
	global_store_short v[2:3], v4, off
	v_lshlrev_b64 v[2:3], 1, v[11:12]
	v_mov_b32_e32 v4, s87
	v_add_co_u32_e32 v2, vcc, s86, v2
	v_addc_co_u32_e32 v3, vcc, v4, v3, vcc
	v_lshlrev_b32_e32 v4, 1, v26
	v_add_co_u32_e32 v2, vcc, v2, v4
	ds_read_b64 v[4:5], v37
	v_addc_co_u32_e32 v3, vcc, 0, v3, vcc
	s_waitcnt lgkmcnt(7)
	global_store_short v[2:3], v6, off
	ds_read_b64 v[2:3], v38
	ds_read_b64 v[6:7], v39
	;; [unrolled: 1-line block ×3, first 2 shown]
	s_waitcnt lgkmcnt(3)
	v_lshlrev_b64 v[4:5], 1, v[4:5]
	v_mov_b32_e32 v17, s87
	v_add_co_u32_e32 v4, vcc, s86, v4
	v_addc_co_u32_e32 v5, vcc, v17, v5, vcc
	v_lshlrev_b32_e32 v17, 1, v36
	v_add_co_u32_e32 v4, vcc, v4, v17
	s_waitcnt lgkmcnt(2)
	v_lshlrev_b64 v[2:3], 1, v[2:3]
	v_addc_co_u32_e32 v5, vcc, 0, v5, vcc
	global_store_short v[4:5], v8, off
	v_mov_b32_e32 v4, s87
	v_add_co_u32_e32 v2, vcc, s86, v2
	v_addc_co_u32_e32 v3, vcc, v4, v3, vcc
	v_lshlrev_b32_e32 v4, 1, v56
	v_add_co_u32_e32 v2, vcc, v2, v4
	v_addc_co_u32_e32 v3, vcc, 0, v3, vcc
	global_store_short v[2:3], v13, off
	s_waitcnt lgkmcnt(1)
	v_lshlrev_b64 v[2:3], 1, v[6:7]
	v_mov_b32_e32 v4, s87
	v_add_co_u32_e32 v2, vcc, s86, v2
	v_addc_co_u32_e32 v3, vcc, v4, v3, vcc
	v_lshlrev_b32_e32 v4, 1, v44
	v_add_co_u32_e32 v2, vcc, v2, v4
	v_addc_co_u32_e32 v3, vcc, 0, v3, vcc
	global_store_short v[2:3], v14, off
	s_waitcnt lgkmcnt(0)
	v_lshlrev_b64 v[2:3], 1, v[11:12]
	v_mov_b32_e32 v4, s87
	v_add_co_u32_e32 v2, vcc, s86, v2
	v_addc_co_u32_e32 v3, vcc, v4, v3, vcc
	v_lshlrev_b32_e32 v4, 1, v62
	v_add_co_u32_e32 v2, vcc, v2, v4
	v_addc_co_u32_e32 v3, vcc, 0, v3, vcc
	global_store_short v[2:3], v15, off
	v_lshlrev_b64 v[2:3], 1, v[22:23]
	v_mov_b32_e32 v4, s87
	v_add_co_u32_e32 v2, vcc, s86, v2
	v_addc_co_u32_e32 v3, vcc, v4, v3, vcc
	v_lshlrev_b32_e32 v4, 1, v68
	v_add_co_u32_e32 v2, vcc, v2, v4
	v_addc_co_u32_e32 v3, vcc, 0, v3, vcc
	global_store_short v[2:3], v16, off
	;; [unrolled: 8-line block ×3, first 2 shown]
	s_cbranch_scc1 .LBB15_273
; %bb.272:
	ds_read_b64 v[2:3], v1
	v_add_co_u32_e32 v0, vcc, v10, v9
	v_addc_co_u32_e64 v4, s[0:1], 0, 0, vcc
	s_waitcnt lgkmcnt(0)
	v_add_co_u32_e32 v2, vcc, v0, v2
	v_addc_co_u32_e32 v3, vcc, v4, v3, vcc
	global_store_dwordx2 v1, v[2:3], s[2:3]
.LBB15_273:
	s_endpgm
.LBB15_274:
	s_or_b64 exec, exec, s[0:1]
	s_and_saveexec_b64 s[0:1], s[40:41]
	s_cbranch_execz .LBB15_199
.LBB15_275:
	v_lshlrev_b32_e32 v10, 3, v65
	ds_read_b64 v[10:11], v10
	v_lshlrev_b32_e32 v22, 1, v0
	ds_read_u16 v24, v22 offset:2560
	v_mov_b32_e32 v26, s87
	s_waitcnt lgkmcnt(1)
	v_lshlrev_b64 v[10:11], 1, v[10:11]
	v_add_co_u32_e32 v10, vcc, s86, v10
	v_addc_co_u32_e32 v11, vcc, v26, v11, vcc
	v_add_co_u32_e32 v10, vcc, v10, v22
	v_addc_co_u32_e32 v11, vcc, 0, v11, vcc
	s_waitcnt lgkmcnt(0)
	global_store_short v[10:11], v24, off offset:512
	s_or_b64 exec, exec, s[0:1]
	s_and_saveexec_b64 s[0:1], s[42:43]
	s_cbranch_execnz .LBB15_200
.LBB15_276:
	s_or_b64 exec, exec, s[0:1]
	s_and_saveexec_b64 s[0:1], s[44:45]
	s_cbranch_execz .LBB15_201
.LBB15_277:
	v_lshlrev_b32_e32 v10, 3, v61
	ds_read_b64 v[10:11], v10
	v_lshlrev_b32_e32 v22, 1, v0
	ds_read_u16 v24, v22 offset:3584
	v_mov_b32_e32 v26, s87
	s_waitcnt lgkmcnt(1)
	v_lshlrev_b64 v[10:11], 1, v[10:11]
	v_add_co_u32_e32 v10, vcc, s86, v10
	v_addc_co_u32_e32 v11, vcc, v26, v11, vcc
	v_add_co_u32_e32 v10, vcc, v10, v22
	v_addc_co_u32_e32 v11, vcc, 0, v11, vcc
	s_waitcnt lgkmcnt(0)
	global_store_short v[10:11], v24, off offset:1536
	s_or_b64 exec, exec, s[0:1]
	s_and_saveexec_b64 s[0:1], s[46:47]
	s_cbranch_execnz .LBB15_202
.LBB15_278:
	s_or_b64 exec, exec, s[0:1]
	s_and_saveexec_b64 s[0:1], s[48:49]
	s_cbranch_execz .LBB15_203
.LBB15_279:
	v_lshlrev_b32_e32 v10, 3, v58
	ds_read_b64 v[10:11], v10
	v_lshlrev_b32_e32 v22, 1, v0
	ds_read_u16 v24, v22 offset:4608
	v_mov_b32_e32 v26, s87
	s_waitcnt lgkmcnt(1)
	v_lshlrev_b64 v[10:11], 1, v[10:11]
	v_add_co_u32_e32 v10, vcc, s86, v10
	v_addc_co_u32_e32 v11, vcc, v26, v11, vcc
	v_add_co_u32_e32 v10, vcc, v10, v22
	v_addc_co_u32_e32 v11, vcc, 0, v11, vcc
	s_waitcnt lgkmcnt(0)
	global_store_short v[10:11], v24, off offset:2560
	s_or_b64 exec, exec, s[0:1]
	s_and_saveexec_b64 s[0:1], s[50:51]
	s_cbranch_execnz .LBB15_204
.LBB15_280:
	s_or_b64 exec, exec, s[0:1]
	s_and_saveexec_b64 s[0:1], s[52:53]
	s_cbranch_execz .LBB15_205
.LBB15_281:
	v_lshlrev_b32_e32 v10, 3, v53
	ds_read_b64 v[10:11], v10
	v_lshlrev_b32_e32 v22, 1, v0
	ds_read_u16 v24, v22 offset:5632
	v_mov_b32_e32 v26, s87
	s_waitcnt lgkmcnt(1)
	v_lshlrev_b64 v[10:11], 1, v[10:11]
	v_add_co_u32_e32 v10, vcc, s86, v10
	v_addc_co_u32_e32 v11, vcc, v26, v11, vcc
	v_add_co_u32_e32 v10, vcc, v10, v22
	v_addc_co_u32_e32 v11, vcc, 0, v11, vcc
	s_waitcnt lgkmcnt(0)
	global_store_short v[10:11], v24, off offset:3584
	s_or_b64 exec, exec, s[0:1]
	s_and_saveexec_b64 s[0:1], s[54:55]
	s_cbranch_execnz .LBB15_206
.LBB15_282:
	s_or_b64 exec, exec, s[0:1]
	s_and_saveexec_b64 s[0:1], s[56:57]
	s_cbranch_execz .LBB15_207
.LBB15_283:
	v_lshlrev_b32_e32 v5, 3, v47
	ds_read_b64 v[10:11], v5
	v_lshlrev_b32_e32 v5, 1, v0
	ds_read_u16 v22, v5 offset:6656
	v_mov_b32_e32 v5, s87
	s_waitcnt lgkmcnt(1)
	v_lshlrev_b64 v[10:11], 1, v[10:11]
	v_add_co_u32_e32 v10, vcc, s86, v10
	v_addc_co_u32_e32 v11, vcc, v5, v11, vcc
	v_lshlrev_b32_e32 v5, 1, v6
	v_add_co_u32_e32 v5, vcc, v10, v5
	v_addc_co_u32_e32 v6, vcc, 0, v11, vcc
	s_waitcnt lgkmcnt(0)
	global_store_short v[5:6], v22, off
	s_or_b64 exec, exec, s[0:1]
	s_and_saveexec_b64 s[0:1], s[58:59]
	s_cbranch_execnz .LBB15_208
.LBB15_284:
	s_or_b64 exec, exec, s[0:1]
	s_and_saveexec_b64 s[0:1], s[60:61]
	s_cbranch_execz .LBB15_209
.LBB15_285:
	v_lshlrev_b32_e32 v5, 3, v28
	ds_read_b64 v[5:6], v5
	v_lshlrev_b32_e32 v8, 1, v0
	ds_read_u16 v8, v8 offset:7680
	v_mov_b32_e32 v10, s87
	s_waitcnt lgkmcnt(1)
	v_lshlrev_b64 v[5:6], 1, v[5:6]
	v_add_co_u32_e32 v5, vcc, s86, v5
	v_addc_co_u32_e32 v6, vcc, v10, v6, vcc
	v_lshlrev_b32_e32 v10, 1, v13
	v_add_co_u32_e32 v5, vcc, v5, v10
	v_addc_co_u32_e32 v6, vcc, 0, v6, vcc
	s_waitcnt lgkmcnt(0)
	global_store_short v[5:6], v8, off
	s_or_b64 exec, exec, s[0:1]
	s_and_saveexec_b64 s[0:1], s[62:63]
	s_cbranch_execnz .LBB15_210
.LBB15_286:
	s_or_b64 exec, exec, s[0:1]
	s_and_saveexec_b64 s[0:1], s[64:65]
	s_cbranch_execz .LBB15_211
.LBB15_287:
	v_lshlrev_b32_e32 v5, 3, v23
	ds_read_b64 v[5:6], v5
	v_lshlrev_b32_e32 v8, 1, v0
	ds_read_u16 v8, v8 offset:8704
	v_mov_b32_e32 v10, s87
	s_waitcnt lgkmcnt(1)
	v_lshlrev_b64 v[5:6], 1, v[5:6]
	v_add_co_u32_e32 v5, vcc, s86, v5
	v_addc_co_u32_e32 v6, vcc, v10, v6, vcc
	v_lshlrev_b32_e32 v10, 1, v15
	v_add_co_u32_e32 v5, vcc, v5, v10
	v_addc_co_u32_e32 v6, vcc, 0, v6, vcc
	s_waitcnt lgkmcnt(0)
	global_store_short v[5:6], v8, off
	s_or_b64 exec, exec, s[0:1]
	s_and_saveexec_b64 s[0:1], s[66:67]
	s_cbranch_execnz .LBB15_212
.LBB15_288:
	s_or_b64 exec, exec, s[0:1]
	s_and_saveexec_b64 s[0:1], s[68:69]
	s_cbranch_execz .LBB15_213
.LBB15_289:
	v_lshlrev_b32_e32 v4, 3, v4
	ds_read_b64 v[4:5], v4
	v_lshlrev_b32_e32 v6, 1, v0
	ds_read_u16 v6, v6 offset:9728
	v_mov_b32_e32 v8, s87
	s_waitcnt lgkmcnt(1)
	v_lshlrev_b64 v[4:5], 1, v[4:5]
	v_add_co_u32_e32 v4, vcc, s86, v4
	v_addc_co_u32_e32 v5, vcc, v8, v5, vcc
	v_lshlrev_b32_e32 v8, 1, v17
	v_add_co_u32_e32 v4, vcc, v4, v8
	v_addc_co_u32_e32 v5, vcc, 0, v5, vcc
	s_waitcnt lgkmcnt(0)
	global_store_short v[4:5], v6, off
	s_or_b64 exec, exec, s[0:1]
	s_and_saveexec_b64 s[0:1], s[70:71]
	s_cbranch_execnz .LBB15_214
.LBB15_290:
	s_or_b64 exec, exec, s[0:1]
	s_and_saveexec_b64 s[0:1], s[72:73]
	s_cbranch_execz .LBB15_215
.LBB15_291:
	v_lshlrev_b32_e32 v3, 3, v3
	ds_read_b64 v[3:4], v3
	v_lshlrev_b32_e32 v5, 1, v0
	ds_read_u16 v5, v5 offset:10752
	v_mov_b32_e32 v6, s87
	s_waitcnt lgkmcnt(1)
	v_lshlrev_b64 v[3:4], 1, v[3:4]
	v_add_co_u32_e32 v3, vcc, s86, v3
	v_addc_co_u32_e32 v4, vcc, v6, v4, vcc
	v_lshlrev_b32_e32 v6, 1, v19
	v_add_co_u32_e32 v3, vcc, v3, v6
	v_addc_co_u32_e32 v4, vcc, 0, v4, vcc
	s_waitcnt lgkmcnt(0)
	global_store_short v[3:4], v5, off
	s_or_b64 exec, exec, s[0:1]
	s_add_i32 s33, s33, -1
	s_cmp_eq_u32 s6, s33
	s_cbranch_scc1 .LBB15_216
	s_branch .LBB15_217
	.section	.rodata,"a",@progbits
	.p2align	6, 0x0
	.amdhsa_kernel _ZN7rocprim17ROCPRIM_304000_NS6detail25onesweep_iteration_kernelINS1_34wrapped_radix_sort_onesweep_configINS0_14default_configEiN2at4cuda3cub6detail10OpaqueTypeILi2EEEEELb1EPiSC_PSA_SD_mNS0_19identity_decomposerEEEvT1_T2_T3_T4_jPT5_SK_PNS1_23onesweep_lookback_stateET6_jjj
		.amdhsa_group_segment_fixed_size 20480
		.amdhsa_private_segment_fixed_size 0
		.amdhsa_kernarg_size 336
		.amdhsa_user_sgpr_count 6
		.amdhsa_user_sgpr_private_segment_buffer 1
		.amdhsa_user_sgpr_dispatch_ptr 0
		.amdhsa_user_sgpr_queue_ptr 0
		.amdhsa_user_sgpr_kernarg_segment_ptr 1
		.amdhsa_user_sgpr_dispatch_id 0
		.amdhsa_user_sgpr_flat_scratch_init 0
		.amdhsa_user_sgpr_private_segment_size 0
		.amdhsa_uses_dynamic_stack 0
		.amdhsa_system_sgpr_private_segment_wavefront_offset 0
		.amdhsa_system_sgpr_workgroup_id_x 1
		.amdhsa_system_sgpr_workgroup_id_y 0
		.amdhsa_system_sgpr_workgroup_id_z 0
		.amdhsa_system_sgpr_workgroup_info 0
		.amdhsa_system_vgpr_workitem_id 2
		.amdhsa_next_free_vgpr 89
		.amdhsa_next_free_sgpr 98
		.amdhsa_reserve_vcc 1
		.amdhsa_reserve_flat_scratch 0
		.amdhsa_float_round_mode_32 0
		.amdhsa_float_round_mode_16_64 0
		.amdhsa_float_denorm_mode_32 3
		.amdhsa_float_denorm_mode_16_64 3
		.amdhsa_dx10_clamp 1
		.amdhsa_ieee_mode 1
		.amdhsa_fp16_overflow 0
		.amdhsa_exception_fp_ieee_invalid_op 0
		.amdhsa_exception_fp_denorm_src 0
		.amdhsa_exception_fp_ieee_div_zero 0
		.amdhsa_exception_fp_ieee_overflow 0
		.amdhsa_exception_fp_ieee_underflow 0
		.amdhsa_exception_fp_ieee_inexact 0
		.amdhsa_exception_int_div_zero 0
	.end_amdhsa_kernel
	.section	.text._ZN7rocprim17ROCPRIM_304000_NS6detail25onesweep_iteration_kernelINS1_34wrapped_radix_sort_onesweep_configINS0_14default_configEiN2at4cuda3cub6detail10OpaqueTypeILi2EEEEELb1EPiSC_PSA_SD_mNS0_19identity_decomposerEEEvT1_T2_T3_T4_jPT5_SK_PNS1_23onesweep_lookback_stateET6_jjj,"axG",@progbits,_ZN7rocprim17ROCPRIM_304000_NS6detail25onesweep_iteration_kernelINS1_34wrapped_radix_sort_onesweep_configINS0_14default_configEiN2at4cuda3cub6detail10OpaqueTypeILi2EEEEELb1EPiSC_PSA_SD_mNS0_19identity_decomposerEEEvT1_T2_T3_T4_jPT5_SK_PNS1_23onesweep_lookback_stateET6_jjj,comdat
.Lfunc_end15:
	.size	_ZN7rocprim17ROCPRIM_304000_NS6detail25onesweep_iteration_kernelINS1_34wrapped_radix_sort_onesweep_configINS0_14default_configEiN2at4cuda3cub6detail10OpaqueTypeILi2EEEEELb1EPiSC_PSA_SD_mNS0_19identity_decomposerEEEvT1_T2_T3_T4_jPT5_SK_PNS1_23onesweep_lookback_stateET6_jjj, .Lfunc_end15-_ZN7rocprim17ROCPRIM_304000_NS6detail25onesweep_iteration_kernelINS1_34wrapped_radix_sort_onesweep_configINS0_14default_configEiN2at4cuda3cub6detail10OpaqueTypeILi2EEEEELb1EPiSC_PSA_SD_mNS0_19identity_decomposerEEEvT1_T2_T3_T4_jPT5_SK_PNS1_23onesweep_lookback_stateET6_jjj
                                        ; -- End function
	.set _ZN7rocprim17ROCPRIM_304000_NS6detail25onesweep_iteration_kernelINS1_34wrapped_radix_sort_onesweep_configINS0_14default_configEiN2at4cuda3cub6detail10OpaqueTypeILi2EEEEELb1EPiSC_PSA_SD_mNS0_19identity_decomposerEEEvT1_T2_T3_T4_jPT5_SK_PNS1_23onesweep_lookback_stateET6_jjj.num_vgpr, 89
	.set _ZN7rocprim17ROCPRIM_304000_NS6detail25onesweep_iteration_kernelINS1_34wrapped_radix_sort_onesweep_configINS0_14default_configEiN2at4cuda3cub6detail10OpaqueTypeILi2EEEEELb1EPiSC_PSA_SD_mNS0_19identity_decomposerEEEvT1_T2_T3_T4_jPT5_SK_PNS1_23onesweep_lookback_stateET6_jjj.num_agpr, 0
	.set _ZN7rocprim17ROCPRIM_304000_NS6detail25onesweep_iteration_kernelINS1_34wrapped_radix_sort_onesweep_configINS0_14default_configEiN2at4cuda3cub6detail10OpaqueTypeILi2EEEEELb1EPiSC_PSA_SD_mNS0_19identity_decomposerEEEvT1_T2_T3_T4_jPT5_SK_PNS1_23onesweep_lookback_stateET6_jjj.numbered_sgpr, 96
	.set _ZN7rocprim17ROCPRIM_304000_NS6detail25onesweep_iteration_kernelINS1_34wrapped_radix_sort_onesweep_configINS0_14default_configEiN2at4cuda3cub6detail10OpaqueTypeILi2EEEEELb1EPiSC_PSA_SD_mNS0_19identity_decomposerEEEvT1_T2_T3_T4_jPT5_SK_PNS1_23onesweep_lookback_stateET6_jjj.num_named_barrier, 0
	.set _ZN7rocprim17ROCPRIM_304000_NS6detail25onesweep_iteration_kernelINS1_34wrapped_radix_sort_onesweep_configINS0_14default_configEiN2at4cuda3cub6detail10OpaqueTypeILi2EEEEELb1EPiSC_PSA_SD_mNS0_19identity_decomposerEEEvT1_T2_T3_T4_jPT5_SK_PNS1_23onesweep_lookback_stateET6_jjj.private_seg_size, 0
	.set _ZN7rocprim17ROCPRIM_304000_NS6detail25onesweep_iteration_kernelINS1_34wrapped_radix_sort_onesweep_configINS0_14default_configEiN2at4cuda3cub6detail10OpaqueTypeILi2EEEEELb1EPiSC_PSA_SD_mNS0_19identity_decomposerEEEvT1_T2_T3_T4_jPT5_SK_PNS1_23onesweep_lookback_stateET6_jjj.uses_vcc, 1
	.set _ZN7rocprim17ROCPRIM_304000_NS6detail25onesweep_iteration_kernelINS1_34wrapped_radix_sort_onesweep_configINS0_14default_configEiN2at4cuda3cub6detail10OpaqueTypeILi2EEEEELb1EPiSC_PSA_SD_mNS0_19identity_decomposerEEEvT1_T2_T3_T4_jPT5_SK_PNS1_23onesweep_lookback_stateET6_jjj.uses_flat_scratch, 0
	.set _ZN7rocprim17ROCPRIM_304000_NS6detail25onesweep_iteration_kernelINS1_34wrapped_radix_sort_onesweep_configINS0_14default_configEiN2at4cuda3cub6detail10OpaqueTypeILi2EEEEELb1EPiSC_PSA_SD_mNS0_19identity_decomposerEEEvT1_T2_T3_T4_jPT5_SK_PNS1_23onesweep_lookback_stateET6_jjj.has_dyn_sized_stack, 0
	.set _ZN7rocprim17ROCPRIM_304000_NS6detail25onesweep_iteration_kernelINS1_34wrapped_radix_sort_onesweep_configINS0_14default_configEiN2at4cuda3cub6detail10OpaqueTypeILi2EEEEELb1EPiSC_PSA_SD_mNS0_19identity_decomposerEEEvT1_T2_T3_T4_jPT5_SK_PNS1_23onesweep_lookback_stateET6_jjj.has_recursion, 0
	.set _ZN7rocprim17ROCPRIM_304000_NS6detail25onesweep_iteration_kernelINS1_34wrapped_radix_sort_onesweep_configINS0_14default_configEiN2at4cuda3cub6detail10OpaqueTypeILi2EEEEELb1EPiSC_PSA_SD_mNS0_19identity_decomposerEEEvT1_T2_T3_T4_jPT5_SK_PNS1_23onesweep_lookback_stateET6_jjj.has_indirect_call, 0
	.section	.AMDGPU.csdata,"",@progbits
; Kernel info:
; codeLenInByte = 26556
; TotalNumSgprs: 100
; NumVgprs: 89
; ScratchSize: 0
; MemoryBound: 0
; FloatMode: 240
; IeeeMode: 1
; LDSByteSize: 20480 bytes/workgroup (compile time only)
; SGPRBlocks: 12
; VGPRBlocks: 22
; NumSGPRsForWavesPerEU: 102
; NumVGPRsForWavesPerEU: 89
; Occupancy: 2
; WaveLimiterHint : 1
; COMPUTE_PGM_RSRC2:SCRATCH_EN: 0
; COMPUTE_PGM_RSRC2:USER_SGPR: 6
; COMPUTE_PGM_RSRC2:TRAP_HANDLER: 0
; COMPUTE_PGM_RSRC2:TGID_X_EN: 1
; COMPUTE_PGM_RSRC2:TGID_Y_EN: 0
; COMPUTE_PGM_RSRC2:TGID_Z_EN: 0
; COMPUTE_PGM_RSRC2:TIDIG_COMP_CNT: 2
	.section	.text._ZN7rocprim17ROCPRIM_304000_NS6detail28radix_sort_block_sort_kernelINS1_36wrapped_radix_sort_block_sort_configINS0_13kernel_configILj256ELj4ELj4294967295EEEiN2at4cuda3cub6detail10OpaqueTypeILi2EEEEELb0EPKiPiPKSB_PSB_NS0_19identity_decomposerEEEvT1_T2_T3_T4_jT5_jj,"axG",@progbits,_ZN7rocprim17ROCPRIM_304000_NS6detail28radix_sort_block_sort_kernelINS1_36wrapped_radix_sort_block_sort_configINS0_13kernel_configILj256ELj4ELj4294967295EEEiN2at4cuda3cub6detail10OpaqueTypeILi2EEEEELb0EPKiPiPKSB_PSB_NS0_19identity_decomposerEEEvT1_T2_T3_T4_jT5_jj,comdat
	.protected	_ZN7rocprim17ROCPRIM_304000_NS6detail28radix_sort_block_sort_kernelINS1_36wrapped_radix_sort_block_sort_configINS0_13kernel_configILj256ELj4ELj4294967295EEEiN2at4cuda3cub6detail10OpaqueTypeILi2EEEEELb0EPKiPiPKSB_PSB_NS0_19identity_decomposerEEEvT1_T2_T3_T4_jT5_jj ; -- Begin function _ZN7rocprim17ROCPRIM_304000_NS6detail28radix_sort_block_sort_kernelINS1_36wrapped_radix_sort_block_sort_configINS0_13kernel_configILj256ELj4ELj4294967295EEEiN2at4cuda3cub6detail10OpaqueTypeILi2EEEEELb0EPKiPiPKSB_PSB_NS0_19identity_decomposerEEEvT1_T2_T3_T4_jT5_jj
	.globl	_ZN7rocprim17ROCPRIM_304000_NS6detail28radix_sort_block_sort_kernelINS1_36wrapped_radix_sort_block_sort_configINS0_13kernel_configILj256ELj4ELj4294967295EEEiN2at4cuda3cub6detail10OpaqueTypeILi2EEEEELb0EPKiPiPKSB_PSB_NS0_19identity_decomposerEEEvT1_T2_T3_T4_jT5_jj
	.p2align	8
	.type	_ZN7rocprim17ROCPRIM_304000_NS6detail28radix_sort_block_sort_kernelINS1_36wrapped_radix_sort_block_sort_configINS0_13kernel_configILj256ELj4ELj4294967295EEEiN2at4cuda3cub6detail10OpaqueTypeILi2EEEEELb0EPKiPiPKSB_PSB_NS0_19identity_decomposerEEEvT1_T2_T3_T4_jT5_jj,@function
_ZN7rocprim17ROCPRIM_304000_NS6detail28radix_sort_block_sort_kernelINS1_36wrapped_radix_sort_block_sort_configINS0_13kernel_configILj256ELj4ELj4294967295EEEiN2at4cuda3cub6detail10OpaqueTypeILi2EEEEELb0EPKiPiPKSB_PSB_NS0_19identity_decomposerEEEvT1_T2_T3_T4_jT5_jj: ; @_ZN7rocprim17ROCPRIM_304000_NS6detail28radix_sort_block_sort_kernelINS1_36wrapped_radix_sort_block_sort_configINS0_13kernel_configILj256ELj4ELj4294967295EEEiN2at4cuda3cub6detail10OpaqueTypeILi2EEEEELb0EPKiPiPKSB_PSB_NS0_19identity_decomposerEEEvT1_T2_T3_T4_jT5_jj
; %bb.0:
	s_load_dword s2, s[4:5], 0x20
	s_load_dwordx8 s[36:43], s[4:5], 0x0
	s_lshl_b32 s28, s6, 10
	s_mov_b32 s29, 0
	v_mbcnt_lo_u32_b32 v3, -1, 0
	s_waitcnt lgkmcnt(0)
	s_lshr_b32 s0, s2, 10
	s_cmp_lg_u32 s6, s0
	s_cselect_b64 s[30:31], -1, 0
	s_lshl_b64 s[34:35], s[28:29], 2
	s_add_u32 s1, s36, s34
	v_mbcnt_hi_u32_b32 v9, -1, v3
	s_addc_u32 s3, s37, s35
	v_lshlrev_b32_e32 v11, 2, v0
	v_lshlrev_b32_e32 v3, 2, v9
	v_and_b32_e32 v15, 0x300, v11
	v_mov_b32_e32 v4, s3
	v_add_co_u32_e32 v3, vcc, s1, v3
	v_addc_co_u32_e32 v4, vcc, 0, v4, vcc
	v_lshlrev_b32_e32 v5, 2, v15
	v_add_co_u32_e32 v7, vcc, v3, v5
	s_cmp_eq_u32 s6, s0
	v_addc_co_u32_e32 v8, vcc, 0, v4, vcc
	v_lshlrev_b32_e32 v14, 1, v9
	v_lshlrev_b32_e32 v13, 1, v15
	v_add_u32_e32 v12, v9, v15
	s_cbranch_scc1 .LBB16_2
; %bb.1:
	s_lshl_b64 s[0:1], s[28:29], 1
	s_add_u32 s0, s40, s0
	s_addc_u32 s1, s41, s1
	v_mov_b32_e32 v10, s1
	v_add_co_u32_e32 v16, vcc, s0, v14
	v_addc_co_u32_e32 v10, vcc, 0, v10, vcc
	v_add_co_u32_e32 v16, vcc, v16, v13
	v_addc_co_u32_e32 v17, vcc, 0, v10, vcc
	global_load_dword v3, v[7:8], off
	global_load_dword v4, v[7:8], off offset:256
	global_load_dword v5, v[7:8], off offset:512
	;; [unrolled: 1-line block ×3, first 2 shown]
	global_load_ushort v10, v[16:17], off
	global_load_ushort v34, v[16:17], off offset:128
	global_load_ushort v35, v[16:17], off offset:256
	;; [unrolled: 1-line block ×3, first 2 shown]
	v_add_u32_e32 v24, v9, v15
	v_add_u32_e32 v21, 64, v24
	;; [unrolled: 1-line block ×4, first 2 shown]
	s_sub_i32 s33, s2, s28
	s_cbranch_execz .LBB16_3
	s_branch .LBB16_17
.LBB16_2:
                                        ; implicit-def: $vgpr3_vgpr4_vgpr5_vgpr6
                                        ; implicit-def: $vgpr10
                                        ; implicit-def: $vgpr34
                                        ; implicit-def: $vgpr35
                                        ; implicit-def: $vgpr36
                                        ; implicit-def: $vgpr24
                                        ; implicit-def: $vgpr21
                                        ; implicit-def: $vgpr22
                                        ; implicit-def: $vgpr23
	s_sub_i32 s33, s2, s28
.LBB16_3:
	s_waitcnt vmcnt(7)
	v_bfrev_b32_e32 v3, -2
	v_cmp_gt_u32_e32 vcc, s33, v12
	s_waitcnt vmcnt(6)
	v_mov_b32_e32 v4, v3
	s_waitcnt vmcnt(5)
	v_mov_b32_e32 v5, v3
	;; [unrolled: 2-line block ×3, first 2 shown]
	s_and_saveexec_b64 s[0:1], vcc
	s_cbranch_execz .LBB16_5
; %bb.4:
	global_load_dword v15, v[7:8], off
	v_mov_b32_e32 v16, v3
	v_mov_b32_e32 v17, v3
	;; [unrolled: 1-line block ×3, first 2 shown]
	s_waitcnt vmcnt(0)
	v_mov_b32_e32 v3, v15
	v_mov_b32_e32 v4, v16
	v_mov_b32_e32 v5, v17
	v_mov_b32_e32 v6, v18
.LBB16_5:
	s_or_b64 exec, exec, s[0:1]
	v_add_u32_e32 v21, 64, v12
	v_cmp_gt_u32_e64 s[0:1], s33, v21
	s_and_saveexec_b64 s[2:3], s[0:1]
	s_cbranch_execz .LBB16_7
; %bb.6:
	global_load_dword v4, v[7:8], off offset:256
.LBB16_7:
	s_or_b64 exec, exec, s[2:3]
	v_add_u32_e32 v22, 0x80, v12
	v_cmp_gt_u32_e64 s[2:3], s33, v22
	s_and_saveexec_b64 s[6:7], s[2:3]
	s_cbranch_execz .LBB16_9
; %bb.8:
	global_load_dword v5, v[7:8], off offset:512
.LBB16_9:
	;; [unrolled: 8-line block ×3, first 2 shown]
	s_or_b64 exec, exec, s[8:9]
	s_lshl_b64 s[8:9], s[28:29], 1
	s_add_u32 s8, s40, s8
	s_addc_u32 s9, s41, s9
	v_mov_b32_e32 v7, s9
	v_add_co_u32_e64 v8, s[8:9], s8, v14
	s_waitcnt vmcnt(3)
	v_addc_co_u32_e64 v10, s[8:9], 0, v7, s[8:9]
	v_add_co_u32_e64 v7, s[8:9], v8, v13
	v_addc_co_u32_e64 v8, s[8:9], 0, v10, s[8:9]
                                        ; implicit-def: $vgpr10
	s_and_saveexec_b64 s[8:9], vcc
	s_cbranch_execnz .LBB16_54
; %bb.12:
	s_or_b64 exec, exec, s[8:9]
                                        ; implicit-def: $vgpr34
	s_and_saveexec_b64 s[8:9], s[0:1]
	s_cbranch_execnz .LBB16_55
.LBB16_13:
	s_or_b64 exec, exec, s[8:9]
                                        ; implicit-def: $vgpr35
	s_and_saveexec_b64 s[0:1], s[2:3]
	s_cbranch_execnz .LBB16_56
.LBB16_14:
	s_or_b64 exec, exec, s[0:1]
                                        ; implicit-def: $vgpr36
	s_and_saveexec_b64 s[0:1], s[6:7]
	s_cbranch_execz .LBB16_16
.LBB16_15:
	global_load_ushort v36, v[7:8], off offset:384
.LBB16_16:
	s_or_b64 exec, exec, s[0:1]
	v_mov_b32_e32 v24, v12
.LBB16_17:
	s_load_dwordx2 s[36:37], s[4:5], 0x28
	s_load_dword s0, s[4:5], 0x3c
	s_mov_b32 s26, 0
	v_lshlrev_b32_e32 v17, 2, v24
	v_lshlrev_b32_e32 v18, 2, v21
	;; [unrolled: 1-line block ×3, first 2 shown]
	s_waitcnt lgkmcnt(0)
	s_lshr_b32 s1, s0, 16
	s_and_b32 s0, s0, 0xffff
	v_mad_u32_u24 v1, v2, s1, v1
	v_mad_u64_u32 v[7:8], s[0:1], v1, s0, v[0:1]
	s_waitcnt vmcnt(0)
	v_xor_b32_e32 v1, 0x80000000, v5
	v_xor_b32_e32 v2, 0x80000000, v6
	v_lshrrev_b32_e32 v5, 4, v7
	v_and_b32_e32 v13, 0xffffffc, v5
	v_and_b32_e32 v5, 15, v9
	v_cmp_eq_u32_e64 s[0:1], 0, v5
	v_cmp_lt_u32_e64 s[2:3], 1, v5
	v_cmp_lt_u32_e64 s[4:5], 3, v5
	;; [unrolled: 1-line block ×3, first 2 shown]
	v_and_b32_e32 v5, 16, v9
	v_cmp_eq_u32_e64 s[8:9], 0, v5
	v_or_b32_e32 v5, 63, v0
	v_cmp_eq_u32_e64 s[12:13], v0, v5
	v_subrev_co_u32_e64 v5, s[18:19], 1, v9
	v_and_b32_e32 v6, 64, v9
	v_cmp_lt_i32_e32 vcc, v5, v6
	v_cndmask_b32_e32 v5, v5, v9, vcc
	v_lshlrev_b32_e32 v15, 2, v5
	v_lshrrev_b32_e32 v5, 4, v0
	v_and_b32_e32 v16, 12, v5
	v_and_b32_e32 v5, 3, v9
	v_cmp_eq_u32_e64 s[22:23], 0, v5
	v_cmp_lt_u32_e64 s[24:25], 1, v5
	v_lshlrev_b32_e32 v5, 1, v24
	v_lshlrev_b32_e32 v6, 1, v21
	;; [unrolled: 1-line block ×5, first 2 shown]
	v_sub_u32_e32 v5, 0, v5
	v_sub_u32_e32 v6, 0, v6
	v_sub_u32_e32 v7, 0, v7
	v_sub_u32_e32 v8, 0, v8
	s_mov_b32 s44, s26
	s_mov_b32 s27, s26
	;; [unrolled: 1-line block ×3, first 2 shown]
	v_add_u32_e32 v22, v17, v5
	v_add_u32_e32 v23, v18, v6
	;; [unrolled: 1-line block ×4, first 2 shown]
	v_mov_b32_e32 v5, s26
	v_mov_b32_e32 v7, s44
	v_xor_b32_e32 v3, 0x80000000, v3
	v_xor_b32_e32 v4, 0x80000000, v4
	s_add_i32 s40, s37, s36
	v_lshlrev_b32_e32 v12, 2, v11
	v_cmp_lt_u32_e64 s[10:11], 31, v9
	v_cmp_gt_u32_e64 s[14:15], 4, v0
	v_cmp_lt_u32_e64 s[16:17], 63, v0
	v_cmp_eq_u32_e64 s[20:21], 0, v0
	v_mul_i32_i24_e32 v14, -12, v0
	v_add_u32_e32 v28, -4, v16
	v_mov_b32_e32 v6, s27
	v_mov_b32_e32 v8, s45
	;; [unrolled: 1-line block ×3, first 2 shown]
	s_branch .LBB16_19
.LBB16_18:                              ;   in Loop: Header=BB16_19 Depth=1
	s_andn2_b64 vcc, exec, s[26:27]
	s_mov_b32 s37, s41
	s_cbranch_vccz .LBB16_35
.LBB16_19:                              ; =>This Inner Loop Header: Depth=1
	s_min_u32 s26, s37, 8
	v_mov_b32_e32 v33, v3
	s_lshl_b32 s26, -1, s26
	v_mov_b32_e32 v31, v1
	s_not_b32 s41, s26
	v_lshrrev_b32_e32 v1, s36, v33
	v_and_b32_e32 v1, s41, v1
	v_mov_b32_e32 v30, v2
	v_and_b32_e32 v2, 1, v1
	v_mov_b32_e32 v32, v4
	v_add_co_u32_e32 v4, vcc, -1, v2
	v_mov_b32_e32 v29, v10
	v_addc_co_u32_e64 v10, s[26:27], 0, -1, vcc
	v_cmp_ne_u32_e32 vcc, 0, v2
	v_xor_b32_e32 v2, vcc_hi, v10
	v_lshlrev_b32_e32 v10, 30, v1
	v_xor_b32_e32 v4, vcc_lo, v4
	v_cmp_gt_i64_e32 vcc, 0, v[9:10]
	v_not_b32_e32 v10, v10
	v_ashrrev_i32_e32 v10, 31, v10
	v_mov_b32_e32 v27, v34
	v_and_b32_e32 v4, exec_lo, v4
	v_xor_b32_e32 v34, vcc_hi, v10
	v_xor_b32_e32 v10, vcc_lo, v10
	v_and_b32_e32 v4, v4, v10
	v_lshlrev_b32_e32 v10, 29, v1
	v_cmp_gt_i64_e32 vcc, 0, v[9:10]
	v_not_b32_e32 v10, v10
	v_and_b32_e32 v2, exec_hi, v2
	v_ashrrev_i32_e32 v10, 31, v10
	v_and_b32_e32 v2, v2, v34
	v_xor_b32_e32 v34, vcc_hi, v10
	v_xor_b32_e32 v10, vcc_lo, v10
	v_and_b32_e32 v4, v4, v10
	v_lshlrev_b32_e32 v10, 28, v1
	v_cmp_gt_i64_e32 vcc, 0, v[9:10]
	v_not_b32_e32 v10, v10
	v_ashrrev_i32_e32 v10, 31, v10
	v_and_b32_e32 v2, v2, v34
	v_xor_b32_e32 v34, vcc_hi, v10
	v_xor_b32_e32 v10, vcc_lo, v10
	v_and_b32_e32 v4, v4, v10
	v_lshlrev_b32_e32 v10, 27, v1
	v_cmp_gt_i64_e32 vcc, 0, v[9:10]
	v_not_b32_e32 v10, v10
	;; [unrolled: 8-line block ×4, first 2 shown]
	v_ashrrev_i32_e32 v10, 31, v10
	v_and_b32_e32 v2, v2, v34
	v_xor_b32_e32 v34, vcc_hi, v10
	v_xor_b32_e32 v10, vcc_lo, v10
	v_and_b32_e32 v4, v4, v10
	v_lshlrev_b32_e32 v10, 24, v1
	v_lshlrev_b32_e32 v3, 4, v1
	v_cmp_gt_i64_e32 vcc, 0, v[9:10]
	v_not_b32_e32 v1, v10
	v_ashrrev_i32_e32 v1, 31, v1
	v_xor_b32_e32 v10, vcc_hi, v1
	v_xor_b32_e32 v1, vcc_lo, v1
	v_and_b32_e32 v2, v2, v34
	v_and_b32_e32 v1, v4, v1
	;; [unrolled: 1-line block ×3, first 2 shown]
	v_mbcnt_lo_u32_b32 v4, v1, 0
	v_mbcnt_hi_u32_b32 v34, v2, v4
	v_cmp_ne_u64_e32 vcc, 0, v[1:2]
	v_cmp_eq_u32_e64 s[26:27], 0, v34
	v_mov_b32_e32 v24, v35
	v_mov_b32_e32 v21, v36
	s_and_b64 s[44:45], vcc, s[26:27]
	v_add_u32_e32 v35, v13, v3
	ds_write2_b64 v12, v[5:6], v[7:8] offset0:2 offset1:3
	s_waitcnt lgkmcnt(0)
	s_barrier
	; wave barrier
	s_and_saveexec_b64 s[26:27], s[44:45]
; %bb.20:                               ;   in Loop: Header=BB16_19 Depth=1
	v_bcnt_u32_b32 v1, v1, 0
	v_bcnt_u32_b32 v1, v2, v1
	ds_write_b32 v35, v1 offset:16
; %bb.21:                               ;   in Loop: Header=BB16_19 Depth=1
	s_or_b64 exec, exec, s[26:27]
	v_lshrrev_b32_e32 v1, s36, v32
	v_and_b32_e32 v1, s41, v1
	v_lshlrev_b32_e32 v2, 4, v1
	v_add_u32_e32 v37, v13, v2
	v_and_b32_e32 v2, 1, v1
	v_add_co_u32_e32 v3, vcc, -1, v2
	v_addc_co_u32_e64 v4, s[26:27], 0, -1, vcc
	v_cmp_ne_u32_e32 vcc, 0, v2
	v_lshlrev_b32_e32 v10, 30, v1
	v_xor_b32_e32 v2, vcc_hi, v4
	v_xor_b32_e32 v3, vcc_lo, v3
	v_cmp_gt_i64_e32 vcc, 0, v[9:10]
	v_not_b32_e32 v4, v10
	v_ashrrev_i32_e32 v4, 31, v4
	v_and_b32_e32 v2, exec_hi, v2
	v_xor_b32_e32 v10, vcc_hi, v4
	v_and_b32_e32 v3, exec_lo, v3
	v_xor_b32_e32 v4, vcc_lo, v4
	v_and_b32_e32 v2, v2, v10
	v_lshlrev_b32_e32 v10, 29, v1
	v_and_b32_e32 v3, v3, v4
	v_cmp_gt_i64_e32 vcc, 0, v[9:10]
	v_not_b32_e32 v4, v10
	v_ashrrev_i32_e32 v4, 31, v4
	v_xor_b32_e32 v10, vcc_hi, v4
	v_xor_b32_e32 v4, vcc_lo, v4
	v_and_b32_e32 v2, v2, v10
	v_lshlrev_b32_e32 v10, 28, v1
	v_and_b32_e32 v3, v3, v4
	v_cmp_gt_i64_e32 vcc, 0, v[9:10]
	v_not_b32_e32 v4, v10
	v_ashrrev_i32_e32 v4, 31, v4
	v_xor_b32_e32 v10, vcc_hi, v4
	;; [unrolled: 8-line block ×5, first 2 shown]
	v_and_b32_e32 v2, v2, v10
	v_lshlrev_b32_e32 v10, 24, v1
	v_xor_b32_e32 v4, vcc_lo, v4
	v_cmp_gt_i64_e32 vcc, 0, v[9:10]
	v_not_b32_e32 v1, v10
	v_ashrrev_i32_e32 v1, 31, v1
	v_and_b32_e32 v3, v3, v4
	v_xor_b32_e32 v4, vcc_hi, v1
	v_xor_b32_e32 v1, vcc_lo, v1
	; wave barrier
	ds_read_b32 v36, v37 offset:16
	v_and_b32_e32 v1, v3, v1
	v_and_b32_e32 v2, v2, v4
	v_mbcnt_lo_u32_b32 v3, v1, 0
	v_mbcnt_hi_u32_b32 v38, v2, v3
	v_cmp_ne_u64_e32 vcc, 0, v[1:2]
	v_cmp_eq_u32_e64 s[26:27], 0, v38
	s_and_b64 s[44:45], vcc, s[26:27]
	; wave barrier
	s_and_saveexec_b64 s[26:27], s[44:45]
	s_cbranch_execz .LBB16_23
; %bb.22:                               ;   in Loop: Header=BB16_19 Depth=1
	v_bcnt_u32_b32 v1, v1, 0
	v_bcnt_u32_b32 v1, v2, v1
	s_waitcnt lgkmcnt(0)
	v_add_u32_e32 v1, v36, v1
	ds_write_b32 v37, v1 offset:16
.LBB16_23:                              ;   in Loop: Header=BB16_19 Depth=1
	s_or_b64 exec, exec, s[26:27]
	v_lshrrev_b32_e32 v1, s36, v31
	v_and_b32_e32 v1, s41, v1
	v_lshlrev_b32_e32 v2, 4, v1
	v_add_u32_e32 v40, v13, v2
	v_and_b32_e32 v2, 1, v1
	v_add_co_u32_e32 v3, vcc, -1, v2
	v_addc_co_u32_e64 v4, s[26:27], 0, -1, vcc
	v_cmp_ne_u32_e32 vcc, 0, v2
	v_lshlrev_b32_e32 v10, 30, v1
	v_xor_b32_e32 v2, vcc_hi, v4
	v_xor_b32_e32 v3, vcc_lo, v3
	v_cmp_gt_i64_e32 vcc, 0, v[9:10]
	v_not_b32_e32 v4, v10
	v_ashrrev_i32_e32 v4, 31, v4
	v_and_b32_e32 v2, exec_hi, v2
	v_xor_b32_e32 v10, vcc_hi, v4
	v_and_b32_e32 v3, exec_lo, v3
	v_xor_b32_e32 v4, vcc_lo, v4
	v_and_b32_e32 v2, v2, v10
	v_lshlrev_b32_e32 v10, 29, v1
	v_and_b32_e32 v3, v3, v4
	v_cmp_gt_i64_e32 vcc, 0, v[9:10]
	v_not_b32_e32 v4, v10
	v_ashrrev_i32_e32 v4, 31, v4
	v_xor_b32_e32 v10, vcc_hi, v4
	v_xor_b32_e32 v4, vcc_lo, v4
	v_and_b32_e32 v2, v2, v10
	v_lshlrev_b32_e32 v10, 28, v1
	v_and_b32_e32 v3, v3, v4
	v_cmp_gt_i64_e32 vcc, 0, v[9:10]
	v_not_b32_e32 v4, v10
	v_ashrrev_i32_e32 v4, 31, v4
	v_xor_b32_e32 v10, vcc_hi, v4
	;; [unrolled: 8-line block ×5, first 2 shown]
	v_and_b32_e32 v2, v2, v10
	v_lshlrev_b32_e32 v10, 24, v1
	v_xor_b32_e32 v4, vcc_lo, v4
	v_cmp_gt_i64_e32 vcc, 0, v[9:10]
	v_not_b32_e32 v1, v10
	v_ashrrev_i32_e32 v1, 31, v1
	v_and_b32_e32 v3, v3, v4
	v_xor_b32_e32 v4, vcc_hi, v1
	v_xor_b32_e32 v1, vcc_lo, v1
	; wave barrier
	ds_read_b32 v39, v40 offset:16
	v_and_b32_e32 v1, v3, v1
	v_and_b32_e32 v2, v2, v4
	v_mbcnt_lo_u32_b32 v3, v1, 0
	v_mbcnt_hi_u32_b32 v41, v2, v3
	v_cmp_ne_u64_e32 vcc, 0, v[1:2]
	v_cmp_eq_u32_e64 s[26:27], 0, v41
	s_and_b64 s[44:45], vcc, s[26:27]
	; wave barrier
	s_and_saveexec_b64 s[26:27], s[44:45]
	s_cbranch_execz .LBB16_25
; %bb.24:                               ;   in Loop: Header=BB16_19 Depth=1
	v_bcnt_u32_b32 v1, v1, 0
	v_bcnt_u32_b32 v1, v2, v1
	s_waitcnt lgkmcnt(0)
	v_add_u32_e32 v1, v39, v1
	ds_write_b32 v40, v1 offset:16
.LBB16_25:                              ;   in Loop: Header=BB16_19 Depth=1
	s_or_b64 exec, exec, s[26:27]
	v_lshrrev_b32_e32 v1, s36, v30
	v_and_b32_e32 v1, s41, v1
	v_lshlrev_b32_e32 v2, 4, v1
	v_add_u32_e32 v43, v13, v2
	v_and_b32_e32 v2, 1, v1
	v_add_co_u32_e32 v3, vcc, -1, v2
	v_addc_co_u32_e64 v4, s[26:27], 0, -1, vcc
	v_cmp_ne_u32_e32 vcc, 0, v2
	v_lshlrev_b32_e32 v10, 30, v1
	v_xor_b32_e32 v2, vcc_hi, v4
	v_xor_b32_e32 v3, vcc_lo, v3
	v_cmp_gt_i64_e32 vcc, 0, v[9:10]
	v_not_b32_e32 v4, v10
	v_ashrrev_i32_e32 v4, 31, v4
	v_and_b32_e32 v2, exec_hi, v2
	v_xor_b32_e32 v10, vcc_hi, v4
	v_and_b32_e32 v3, exec_lo, v3
	v_xor_b32_e32 v4, vcc_lo, v4
	v_and_b32_e32 v2, v2, v10
	v_lshlrev_b32_e32 v10, 29, v1
	v_and_b32_e32 v3, v3, v4
	v_cmp_gt_i64_e32 vcc, 0, v[9:10]
	v_not_b32_e32 v4, v10
	v_ashrrev_i32_e32 v4, 31, v4
	v_xor_b32_e32 v10, vcc_hi, v4
	v_xor_b32_e32 v4, vcc_lo, v4
	v_and_b32_e32 v2, v2, v10
	v_lshlrev_b32_e32 v10, 28, v1
	v_and_b32_e32 v3, v3, v4
	v_cmp_gt_i64_e32 vcc, 0, v[9:10]
	v_not_b32_e32 v4, v10
	v_ashrrev_i32_e32 v4, 31, v4
	v_xor_b32_e32 v10, vcc_hi, v4
	;; [unrolled: 8-line block ×5, first 2 shown]
	v_and_b32_e32 v2, v2, v10
	v_lshlrev_b32_e32 v10, 24, v1
	v_xor_b32_e32 v4, vcc_lo, v4
	v_cmp_gt_i64_e32 vcc, 0, v[9:10]
	v_not_b32_e32 v1, v10
	v_ashrrev_i32_e32 v1, 31, v1
	v_and_b32_e32 v3, v3, v4
	v_xor_b32_e32 v4, vcc_hi, v1
	v_xor_b32_e32 v1, vcc_lo, v1
	; wave barrier
	ds_read_b32 v42, v43 offset:16
	v_and_b32_e32 v1, v3, v1
	v_and_b32_e32 v2, v2, v4
	v_mbcnt_lo_u32_b32 v3, v1, 0
	v_mbcnt_hi_u32_b32 v10, v2, v3
	v_cmp_ne_u64_e32 vcc, 0, v[1:2]
	v_cmp_eq_u32_e64 s[26:27], 0, v10
	s_and_b64 s[44:45], vcc, s[26:27]
	; wave barrier
	s_and_saveexec_b64 s[26:27], s[44:45]
	s_cbranch_execz .LBB16_27
; %bb.26:                               ;   in Loop: Header=BB16_19 Depth=1
	v_bcnt_u32_b32 v1, v1, 0
	v_bcnt_u32_b32 v1, v2, v1
	s_waitcnt lgkmcnt(0)
	v_add_u32_e32 v1, v42, v1
	ds_write_b32 v43, v1 offset:16
.LBB16_27:                              ;   in Loop: Header=BB16_19 Depth=1
	s_or_b64 exec, exec, s[26:27]
	; wave barrier
	s_waitcnt lgkmcnt(0)
	s_barrier
	ds_read2_b64 v[1:4], v12 offset0:2 offset1:3
	s_waitcnt lgkmcnt(0)
	v_add_u32_e32 v44, v2, v1
	v_add3_u32 v4, v44, v3, v4
	s_nop 1
	v_mov_b32_dpp v44, v4 row_shr:1 row_mask:0xf bank_mask:0xf
	v_cndmask_b32_e64 v44, v44, 0, s[0:1]
	v_add_u32_e32 v4, v44, v4
	s_nop 1
	v_mov_b32_dpp v44, v4 row_shr:2 row_mask:0xf bank_mask:0xf
	v_cndmask_b32_e64 v44, 0, v44, s[2:3]
	v_add_u32_e32 v4, v4, v44
	;; [unrolled: 4-line block ×4, first 2 shown]
	s_nop 1
	v_mov_b32_dpp v44, v4 row_bcast:15 row_mask:0xf bank_mask:0xf
	v_cndmask_b32_e64 v44, v44, 0, s[8:9]
	v_add_u32_e32 v4, v4, v44
	s_nop 1
	v_mov_b32_dpp v44, v4 row_bcast:31 row_mask:0xf bank_mask:0xf
	v_cndmask_b32_e64 v44, 0, v44, s[10:11]
	v_add_u32_e32 v4, v4, v44
	s_and_saveexec_b64 s[26:27], s[12:13]
; %bb.28:                               ;   in Loop: Header=BB16_19 Depth=1
	ds_write_b32 v16, v4
; %bb.29:                               ;   in Loop: Header=BB16_19 Depth=1
	s_or_b64 exec, exec, s[26:27]
	s_waitcnt lgkmcnt(0)
	s_barrier
	s_and_saveexec_b64 s[26:27], s[14:15]
	s_cbranch_execz .LBB16_31
; %bb.30:                               ;   in Loop: Header=BB16_19 Depth=1
	v_add_u32_e32 v44, v12, v14
	ds_read_b32 v45, v44
	s_waitcnt lgkmcnt(0)
	s_nop 0
	v_mov_b32_dpp v46, v45 row_shr:1 row_mask:0xf bank_mask:0xf
	v_cndmask_b32_e64 v46, v46, 0, s[22:23]
	v_add_u32_e32 v45, v46, v45
	s_nop 1
	v_mov_b32_dpp v46, v45 row_shr:2 row_mask:0xf bank_mask:0xf
	v_cndmask_b32_e64 v46, 0, v46, s[24:25]
	v_add_u32_e32 v45, v45, v46
	ds_write_b32 v44, v45
.LBB16_31:                              ;   in Loop: Header=BB16_19 Depth=1
	s_or_b64 exec, exec, s[26:27]
	v_mov_b32_e32 v44, 0
	s_waitcnt lgkmcnt(0)
	s_barrier
	s_and_saveexec_b64 s[26:27], s[16:17]
; %bb.32:                               ;   in Loop: Header=BB16_19 Depth=1
	ds_read_b32 v44, v28
; %bb.33:                               ;   in Loop: Header=BB16_19 Depth=1
	s_or_b64 exec, exec, s[26:27]
	s_waitcnt lgkmcnt(0)
	v_add_u32_e32 v4, v44, v4
	ds_bpermute_b32 v4, v15, v4
	s_add_i32 s36, s36, 8
	s_cmp_ge_u32 s36, s40
	s_mov_b64 s[26:27], -1
	v_readfirstlane_b32 s41, v0
	s_waitcnt lgkmcnt(0)
	v_cndmask_b32_e64 v4, v4, v44, s[18:19]
	v_cndmask_b32_e64 v44, v4, 0, s[20:21]
	v_add_u32_e32 v45, v44, v1
	v_add_u32_e32 v1, v45, v2
	;; [unrolled: 1-line block ×3, first 2 shown]
	ds_write2_b64 v12, v[44:45], v[1:2] offset0:2 offset1:3
	s_waitcnt lgkmcnt(0)
	s_barrier
	ds_read_b32 v1, v35 offset:16
	ds_read_b32 v2, v37 offset:16
	;; [unrolled: 1-line block ×4, first 2 shown]
	s_waitcnt lgkmcnt(0)
	v_add_u32_e32 v43, v1, v34
	v_add3_u32 v40, v38, v36, v2
	v_add3_u32 v38, v41, v39, v3
	;; [unrolled: 1-line block ×3, first 2 shown]
	v_lshlrev_b32_e32 v44, 2, v43
	v_lshlrev_b32_e32 v42, 2, v40
	;; [unrolled: 1-line block ×4, first 2 shown]
                                        ; implicit-def: $vgpr2
                                        ; implicit-def: $vgpr1
                                        ; implicit-def: $vgpr4
                                        ; implicit-def: $vgpr3
                                        ; implicit-def: $vgpr10
                                        ; implicit-def: $vgpr34
                                        ; implicit-def: $vgpr35
                                        ; implicit-def: $vgpr36
	s_cbranch_scc1 .LBB16_18
; %bb.34:                               ;   in Loop: Header=BB16_19 Depth=1
	v_lshlrev_b32_e32 v10, 1, v43
	v_sub_u32_e32 v10, v44, v10
	s_barrier
	ds_write_b32 v44, v33
	ds_write_b32 v42, v32
	;; [unrolled: 1-line block ×4, first 2 shown]
	s_waitcnt lgkmcnt(0)
	s_barrier
	ds_read_b32 v3, v17
	ds_read_b32 v4, v18
	;; [unrolled: 1-line block ×4, first 2 shown]
	s_waitcnt lgkmcnt(0)
	s_barrier
	ds_write_b16 v10, v29
	v_lshlrev_b32_e32 v10, 1, v40
	v_sub_u32_e32 v10, v42, v10
	ds_write_b16 v10, v27
	v_lshlrev_b32_e32 v10, 1, v38
	v_sub_u32_e32 v10, v41, v10
	;; [unrolled: 3-line block ×3, first 2 shown]
	ds_write_b16 v10, v21
	s_waitcnt lgkmcnt(0)
	s_barrier
	ds_read_u16 v10, v22
	ds_read_u16 v34, v23
	;; [unrolled: 1-line block ×4, first 2 shown]
	s_add_i32 s41, s37, -8
	s_mov_b64 s[26:27], 0
	s_waitcnt lgkmcnt(0)
	s_barrier
	s_branch .LBB16_18
.LBB16_35:
	v_add_u32_e32 v3, v12, v14
	s_barrier
	ds_write_b32 v44, v33
	ds_write_b32 v42, v32
	;; [unrolled: 1-line block ×4, first 2 shown]
	s_waitcnt lgkmcnt(0)
	s_barrier
	ds_read2st64_b32 v[1:2], v3 offset1:4
	ds_read2st64_b32 v[13:14], v3 offset0:8 offset1:12
	v_lshlrev_b32_e32 v3, 1, v43
	v_sub_u32_e32 v3, v44, v3
	s_waitcnt lgkmcnt(0)
	s_barrier
	ds_write_b16 v3, v29
	v_lshlrev_b32_e32 v3, 1, v40
	v_sub_u32_e32 v3, v42, v3
	ds_write_b16 v3, v27
	v_lshlrev_b32_e32 v3, 1, v38
	v_sub_u32_e32 v3, v41, v3
	;; [unrolled: 3-line block ×3, first 2 shown]
	ds_write_b16 v3, v21
	v_lshlrev_b32_e32 v3, 1, v0
	s_waitcnt lgkmcnt(0)
	s_barrier
	ds_read_u16 v7, v3
	ds_read_u16 v6, v3 offset:512
	ds_read_u16 v5, v3 offset:1024
	;; [unrolled: 1-line block ×3, first 2 shown]
	s_add_u32 s0, s38, s34
	s_addc_u32 s1, s39, s35
	v_xor_b32_e32 v12, 0x80000000, v1
	v_xor_b32_e32 v10, 0x80000000, v2
	v_mov_b32_e32 v2, s1
	v_add_co_u32_e64 v1, s[0:1], s0, v11
	v_xor_b32_e32 v9, 0x80000000, v13
	v_xor_b32_e32 v8, 0x80000000, v14
	s_andn2_b64 vcc, exec, s[30:31]
	v_addc_co_u32_e64 v2, s[0:1], 0, v2, s[0:1]
	s_cbranch_vccnz .LBB16_37
; %bb.36:
	s_lshl_b64 s[0:1], s[28:29], 1
	s_add_u32 s0, s42, s0
	s_addc_u32 s1, s43, s1
	global_store_dword v[1:2], v12, off
	global_store_dword v[1:2], v10, off offset:1024
	global_store_dword v[1:2], v9, off offset:2048
	;; [unrolled: 1-line block ×3, first 2 shown]
	s_waitcnt lgkmcnt(3)
	global_store_short v3, v7, s[0:1]
	s_waitcnt lgkmcnt(2)
	global_store_short v3, v6, s[0:1] offset:512
	s_waitcnt lgkmcnt(1)
	global_store_short v3, v5, s[0:1] offset:1024
	s_mov_b64 s[6:7], -1
	s_cbranch_execz .LBB16_38
	s_branch .LBB16_51
.LBB16_37:
	s_mov_b64 s[6:7], 0
.LBB16_38:
	v_cmp_gt_u32_e32 vcc, s33, v0
	s_and_saveexec_b64 s[0:1], vcc
	s_cbranch_execz .LBB16_40
; %bb.39:
	global_store_dword v[1:2], v12, off
.LBB16_40:
	s_or_b64 exec, exec, s[0:1]
	v_or_b32_e32 v11, 0x100, v0
	v_cmp_gt_u32_e64 s[0:1], s33, v11
	s_and_saveexec_b64 s[2:3], s[0:1]
	s_cbranch_execz .LBB16_42
; %bb.41:
	global_store_dword v[1:2], v10, off offset:1024
.LBB16_42:
	s_or_b64 exec, exec, s[2:3]
	v_or_b32_e32 v10, 0x200, v0
	v_cmp_gt_u32_e64 s[2:3], s33, v10
	s_and_saveexec_b64 s[4:5], s[2:3]
	s_cbranch_execz .LBB16_44
; %bb.43:
	global_store_dword v[1:2], v9, off offset:2048
.LBB16_44:
	s_or_b64 exec, exec, s[4:5]
	v_or_b32_e32 v0, 0x300, v0
	v_cmp_gt_u32_e64 s[6:7], s33, v0
	s_and_saveexec_b64 s[4:5], s[6:7]
	s_cbranch_execz .LBB16_46
; %bb.45:
	global_store_dword v[1:2], v8, off offset:3072
.LBB16_46:
	s_or_b64 exec, exec, s[4:5]
	s_lshl_b64 s[4:5], s[28:29], 1
	s_add_u32 s4, s42, s4
	s_addc_u32 s5, s43, s5
	v_mov_b32_e32 v1, s5
	v_add_co_u32_e64 v0, s[4:5], s4, v3
	v_addc_co_u32_e64 v1, s[4:5], 0, v1, s[4:5]
	s_and_saveexec_b64 s[4:5], vcc
	s_cbranch_execnz .LBB16_57
; %bb.47:
	s_or_b64 exec, exec, s[4:5]
	s_and_saveexec_b64 s[4:5], s[0:1]
	s_cbranch_execnz .LBB16_58
.LBB16_48:
	s_or_b64 exec, exec, s[4:5]
	s_and_saveexec_b64 s[0:1], s[2:3]
	s_cbranch_execz .LBB16_50
.LBB16_49:
	s_waitcnt lgkmcnt(1)
	global_store_short v[0:1], v5, off offset:1024
.LBB16_50:
	s_or_b64 exec, exec, s[0:1]
.LBB16_51:
	s_and_saveexec_b64 s[0:1], s[6:7]
	s_cbranch_execnz .LBB16_53
; %bb.52:
	s_endpgm
.LBB16_53:
	s_lshl_b64 s[0:1], s[28:29], 1
	s_add_u32 s0, s42, s0
	s_addc_u32 s1, s43, s1
	s_waitcnt lgkmcnt(0)
	global_store_short v3, v4, s[0:1] offset:1536
	s_endpgm
.LBB16_54:
	global_load_ushort v10, v[7:8], off
	s_or_b64 exec, exec, s[8:9]
                                        ; implicit-def: $vgpr34
	s_and_saveexec_b64 s[8:9], s[0:1]
	s_cbranch_execz .LBB16_13
.LBB16_55:
	global_load_ushort v34, v[7:8], off offset:128
	s_or_b64 exec, exec, s[8:9]
                                        ; implicit-def: $vgpr35
	s_and_saveexec_b64 s[0:1], s[2:3]
	s_cbranch_execz .LBB16_14
.LBB16_56:
	global_load_ushort v35, v[7:8], off offset:256
	s_or_b64 exec, exec, s[0:1]
                                        ; implicit-def: $vgpr36
	s_and_saveexec_b64 s[0:1], s[6:7]
	s_cbranch_execnz .LBB16_15
	s_branch .LBB16_16
.LBB16_57:
	s_waitcnt lgkmcnt(3)
	global_store_short v[0:1], v7, off
	s_or_b64 exec, exec, s[4:5]
	s_and_saveexec_b64 s[4:5], s[0:1]
	s_cbranch_execz .LBB16_48
.LBB16_58:
	s_waitcnt lgkmcnt(2)
	global_store_short v[0:1], v6, off offset:512
	s_or_b64 exec, exec, s[4:5]
	s_and_saveexec_b64 s[0:1], s[2:3]
	s_cbranch_execnz .LBB16_49
	s_branch .LBB16_50
	.section	.rodata,"a",@progbits
	.p2align	6, 0x0
	.amdhsa_kernel _ZN7rocprim17ROCPRIM_304000_NS6detail28radix_sort_block_sort_kernelINS1_36wrapped_radix_sort_block_sort_configINS0_13kernel_configILj256ELj4ELj4294967295EEEiN2at4cuda3cub6detail10OpaqueTypeILi2EEEEELb0EPKiPiPKSB_PSB_NS0_19identity_decomposerEEEvT1_T2_T3_T4_jT5_jj
		.amdhsa_group_segment_fixed_size 4112
		.amdhsa_private_segment_fixed_size 0
		.amdhsa_kernarg_size 304
		.amdhsa_user_sgpr_count 6
		.amdhsa_user_sgpr_private_segment_buffer 1
		.amdhsa_user_sgpr_dispatch_ptr 0
		.amdhsa_user_sgpr_queue_ptr 0
		.amdhsa_user_sgpr_kernarg_segment_ptr 1
		.amdhsa_user_sgpr_dispatch_id 0
		.amdhsa_user_sgpr_flat_scratch_init 0
		.amdhsa_user_sgpr_private_segment_size 0
		.amdhsa_uses_dynamic_stack 0
		.amdhsa_system_sgpr_private_segment_wavefront_offset 0
		.amdhsa_system_sgpr_workgroup_id_x 1
		.amdhsa_system_sgpr_workgroup_id_y 0
		.amdhsa_system_sgpr_workgroup_id_z 0
		.amdhsa_system_sgpr_workgroup_info 0
		.amdhsa_system_vgpr_workitem_id 2
		.amdhsa_next_free_vgpr 47
		.amdhsa_next_free_sgpr 46
		.amdhsa_reserve_vcc 1
		.amdhsa_reserve_flat_scratch 0
		.amdhsa_float_round_mode_32 0
		.amdhsa_float_round_mode_16_64 0
		.amdhsa_float_denorm_mode_32 3
		.amdhsa_float_denorm_mode_16_64 3
		.amdhsa_dx10_clamp 1
		.amdhsa_ieee_mode 1
		.amdhsa_fp16_overflow 0
		.amdhsa_exception_fp_ieee_invalid_op 0
		.amdhsa_exception_fp_denorm_src 0
		.amdhsa_exception_fp_ieee_div_zero 0
		.amdhsa_exception_fp_ieee_overflow 0
		.amdhsa_exception_fp_ieee_underflow 0
		.amdhsa_exception_fp_ieee_inexact 0
		.amdhsa_exception_int_div_zero 0
	.end_amdhsa_kernel
	.section	.text._ZN7rocprim17ROCPRIM_304000_NS6detail28radix_sort_block_sort_kernelINS1_36wrapped_radix_sort_block_sort_configINS0_13kernel_configILj256ELj4ELj4294967295EEEiN2at4cuda3cub6detail10OpaqueTypeILi2EEEEELb0EPKiPiPKSB_PSB_NS0_19identity_decomposerEEEvT1_T2_T3_T4_jT5_jj,"axG",@progbits,_ZN7rocprim17ROCPRIM_304000_NS6detail28radix_sort_block_sort_kernelINS1_36wrapped_radix_sort_block_sort_configINS0_13kernel_configILj256ELj4ELj4294967295EEEiN2at4cuda3cub6detail10OpaqueTypeILi2EEEEELb0EPKiPiPKSB_PSB_NS0_19identity_decomposerEEEvT1_T2_T3_T4_jT5_jj,comdat
.Lfunc_end16:
	.size	_ZN7rocprim17ROCPRIM_304000_NS6detail28radix_sort_block_sort_kernelINS1_36wrapped_radix_sort_block_sort_configINS0_13kernel_configILj256ELj4ELj4294967295EEEiN2at4cuda3cub6detail10OpaqueTypeILi2EEEEELb0EPKiPiPKSB_PSB_NS0_19identity_decomposerEEEvT1_T2_T3_T4_jT5_jj, .Lfunc_end16-_ZN7rocprim17ROCPRIM_304000_NS6detail28radix_sort_block_sort_kernelINS1_36wrapped_radix_sort_block_sort_configINS0_13kernel_configILj256ELj4ELj4294967295EEEiN2at4cuda3cub6detail10OpaqueTypeILi2EEEEELb0EPKiPiPKSB_PSB_NS0_19identity_decomposerEEEvT1_T2_T3_T4_jT5_jj
                                        ; -- End function
	.set _ZN7rocprim17ROCPRIM_304000_NS6detail28radix_sort_block_sort_kernelINS1_36wrapped_radix_sort_block_sort_configINS0_13kernel_configILj256ELj4ELj4294967295EEEiN2at4cuda3cub6detail10OpaqueTypeILi2EEEEELb0EPKiPiPKSB_PSB_NS0_19identity_decomposerEEEvT1_T2_T3_T4_jT5_jj.num_vgpr, 47
	.set _ZN7rocprim17ROCPRIM_304000_NS6detail28radix_sort_block_sort_kernelINS1_36wrapped_radix_sort_block_sort_configINS0_13kernel_configILj256ELj4ELj4294967295EEEiN2at4cuda3cub6detail10OpaqueTypeILi2EEEEELb0EPKiPiPKSB_PSB_NS0_19identity_decomposerEEEvT1_T2_T3_T4_jT5_jj.num_agpr, 0
	.set _ZN7rocprim17ROCPRIM_304000_NS6detail28radix_sort_block_sort_kernelINS1_36wrapped_radix_sort_block_sort_configINS0_13kernel_configILj256ELj4ELj4294967295EEEiN2at4cuda3cub6detail10OpaqueTypeILi2EEEEELb0EPKiPiPKSB_PSB_NS0_19identity_decomposerEEEvT1_T2_T3_T4_jT5_jj.numbered_sgpr, 46
	.set _ZN7rocprim17ROCPRIM_304000_NS6detail28radix_sort_block_sort_kernelINS1_36wrapped_radix_sort_block_sort_configINS0_13kernel_configILj256ELj4ELj4294967295EEEiN2at4cuda3cub6detail10OpaqueTypeILi2EEEEELb0EPKiPiPKSB_PSB_NS0_19identity_decomposerEEEvT1_T2_T3_T4_jT5_jj.num_named_barrier, 0
	.set _ZN7rocprim17ROCPRIM_304000_NS6detail28radix_sort_block_sort_kernelINS1_36wrapped_radix_sort_block_sort_configINS0_13kernel_configILj256ELj4ELj4294967295EEEiN2at4cuda3cub6detail10OpaqueTypeILi2EEEEELb0EPKiPiPKSB_PSB_NS0_19identity_decomposerEEEvT1_T2_T3_T4_jT5_jj.private_seg_size, 0
	.set _ZN7rocprim17ROCPRIM_304000_NS6detail28radix_sort_block_sort_kernelINS1_36wrapped_radix_sort_block_sort_configINS0_13kernel_configILj256ELj4ELj4294967295EEEiN2at4cuda3cub6detail10OpaqueTypeILi2EEEEELb0EPKiPiPKSB_PSB_NS0_19identity_decomposerEEEvT1_T2_T3_T4_jT5_jj.uses_vcc, 1
	.set _ZN7rocprim17ROCPRIM_304000_NS6detail28radix_sort_block_sort_kernelINS1_36wrapped_radix_sort_block_sort_configINS0_13kernel_configILj256ELj4ELj4294967295EEEiN2at4cuda3cub6detail10OpaqueTypeILi2EEEEELb0EPKiPiPKSB_PSB_NS0_19identity_decomposerEEEvT1_T2_T3_T4_jT5_jj.uses_flat_scratch, 0
	.set _ZN7rocprim17ROCPRIM_304000_NS6detail28radix_sort_block_sort_kernelINS1_36wrapped_radix_sort_block_sort_configINS0_13kernel_configILj256ELj4ELj4294967295EEEiN2at4cuda3cub6detail10OpaqueTypeILi2EEEEELb0EPKiPiPKSB_PSB_NS0_19identity_decomposerEEEvT1_T2_T3_T4_jT5_jj.has_dyn_sized_stack, 0
	.set _ZN7rocprim17ROCPRIM_304000_NS6detail28radix_sort_block_sort_kernelINS1_36wrapped_radix_sort_block_sort_configINS0_13kernel_configILj256ELj4ELj4294967295EEEiN2at4cuda3cub6detail10OpaqueTypeILi2EEEEELb0EPKiPiPKSB_PSB_NS0_19identity_decomposerEEEvT1_T2_T3_T4_jT5_jj.has_recursion, 0
	.set _ZN7rocprim17ROCPRIM_304000_NS6detail28radix_sort_block_sort_kernelINS1_36wrapped_radix_sort_block_sort_configINS0_13kernel_configILj256ELj4ELj4294967295EEEiN2at4cuda3cub6detail10OpaqueTypeILi2EEEEELb0EPKiPiPKSB_PSB_NS0_19identity_decomposerEEEvT1_T2_T3_T4_jT5_jj.has_indirect_call, 0
	.section	.AMDGPU.csdata,"",@progbits
; Kernel info:
; codeLenInByte = 3816
; TotalNumSgprs: 50
; NumVgprs: 47
; ScratchSize: 0
; MemoryBound: 0
; FloatMode: 240
; IeeeMode: 1
; LDSByteSize: 4112 bytes/workgroup (compile time only)
; SGPRBlocks: 6
; VGPRBlocks: 11
; NumSGPRsForWavesPerEU: 50
; NumVGPRsForWavesPerEU: 47
; Occupancy: 5
; WaveLimiterHint : 1
; COMPUTE_PGM_RSRC2:SCRATCH_EN: 0
; COMPUTE_PGM_RSRC2:USER_SGPR: 6
; COMPUTE_PGM_RSRC2:TRAP_HANDLER: 0
; COMPUTE_PGM_RSRC2:TGID_X_EN: 1
; COMPUTE_PGM_RSRC2:TGID_Y_EN: 0
; COMPUTE_PGM_RSRC2:TGID_Z_EN: 0
; COMPUTE_PGM_RSRC2:TIDIG_COMP_CNT: 2
	.section	.text._ZN7rocprim17ROCPRIM_304000_NS6detail45device_block_merge_mergepath_partition_kernelINS1_37wrapped_merge_sort_block_merge_configINS0_14default_configEiN2at4cuda3cub6detail10OpaqueTypeILi2EEEEEPijNS1_19radix_merge_compareILb0ELb0EiNS0_19identity_decomposerEEEEEvT0_T1_jPSH_T2_SH_,"axG",@progbits,_ZN7rocprim17ROCPRIM_304000_NS6detail45device_block_merge_mergepath_partition_kernelINS1_37wrapped_merge_sort_block_merge_configINS0_14default_configEiN2at4cuda3cub6detail10OpaqueTypeILi2EEEEEPijNS1_19radix_merge_compareILb0ELb0EiNS0_19identity_decomposerEEEEEvT0_T1_jPSH_T2_SH_,comdat
	.protected	_ZN7rocprim17ROCPRIM_304000_NS6detail45device_block_merge_mergepath_partition_kernelINS1_37wrapped_merge_sort_block_merge_configINS0_14default_configEiN2at4cuda3cub6detail10OpaqueTypeILi2EEEEEPijNS1_19radix_merge_compareILb0ELb0EiNS0_19identity_decomposerEEEEEvT0_T1_jPSH_T2_SH_ ; -- Begin function _ZN7rocprim17ROCPRIM_304000_NS6detail45device_block_merge_mergepath_partition_kernelINS1_37wrapped_merge_sort_block_merge_configINS0_14default_configEiN2at4cuda3cub6detail10OpaqueTypeILi2EEEEEPijNS1_19radix_merge_compareILb0ELb0EiNS0_19identity_decomposerEEEEEvT0_T1_jPSH_T2_SH_
	.globl	_ZN7rocprim17ROCPRIM_304000_NS6detail45device_block_merge_mergepath_partition_kernelINS1_37wrapped_merge_sort_block_merge_configINS0_14default_configEiN2at4cuda3cub6detail10OpaqueTypeILi2EEEEEPijNS1_19radix_merge_compareILb0ELb0EiNS0_19identity_decomposerEEEEEvT0_T1_jPSH_T2_SH_
	.p2align	8
	.type	_ZN7rocprim17ROCPRIM_304000_NS6detail45device_block_merge_mergepath_partition_kernelINS1_37wrapped_merge_sort_block_merge_configINS0_14default_configEiN2at4cuda3cub6detail10OpaqueTypeILi2EEEEEPijNS1_19radix_merge_compareILb0ELb0EiNS0_19identity_decomposerEEEEEvT0_T1_jPSH_T2_SH_,@function
_ZN7rocprim17ROCPRIM_304000_NS6detail45device_block_merge_mergepath_partition_kernelINS1_37wrapped_merge_sort_block_merge_configINS0_14default_configEiN2at4cuda3cub6detail10OpaqueTypeILi2EEEEEPijNS1_19radix_merge_compareILb0ELb0EiNS0_19identity_decomposerEEEEEvT0_T1_jPSH_T2_SH_: ; @_ZN7rocprim17ROCPRIM_304000_NS6detail45device_block_merge_mergepath_partition_kernelINS1_37wrapped_merge_sort_block_merge_configINS0_14default_configEiN2at4cuda3cub6detail10OpaqueTypeILi2EEEEEPijNS1_19radix_merge_compareILb0ELb0EiNS0_19identity_decomposerEEEEEvT0_T1_jPSH_T2_SH_
; %bb.0:
	s_load_dwordx2 s[0:1], s[4:5], 0x8
	v_lshl_or_b32 v0, s6, 7, v0
	s_waitcnt lgkmcnt(0)
	v_cmp_gt_u32_e32 vcc, s1, v0
	s_and_saveexec_b64 s[2:3], vcc
	s_cbranch_execz .LBB17_6
; %bb.1:
	s_load_dword s1, s[4:5], 0x1c
	s_waitcnt lgkmcnt(0)
	s_lshr_b32 s2, s1, 9
	s_and_b32 s2, s2, 0x7ffffe
	s_add_i32 s3, s2, -1
	s_sub_i32 s2, 0, s2
	v_and_b32_e32 v1, s2, v0
	v_lshlrev_b32_e32 v3, 10, v1
	v_min_u32_e32 v1, s0, v3
	v_add_u32_e32 v3, s1, v3
	v_min_u32_e32 v3, s0, v3
	v_add_u32_e32 v4, s1, v3
	v_and_b32_e32 v2, s3, v0
	v_min_u32_e32 v4, s0, v4
	v_lshlrev_b32_e32 v2, 10, v2
	v_sub_u32_e32 v5, v4, v1
	v_min_u32_e32 v6, v5, v2
	v_sub_u32_e32 v2, v3, v1
	v_sub_u32_e32 v4, v4, v3
	v_sub_u32_e64 v5, v6, v4 clamp
	v_min_u32_e32 v7, v6, v2
	v_cmp_lt_u32_e32 vcc, v5, v7
	s_and_saveexec_b64 s[0:1], vcc
	s_cbranch_execz .LBB17_5
; %bb.2:
	s_load_dwordx2 s[2:3], s[4:5], 0x0
	v_mov_b32_e32 v4, 0
	v_mov_b32_e32 v2, v4
	v_lshlrev_b64 v[8:9], 2, v[1:2]
	s_waitcnt lgkmcnt(0)
	v_mov_b32_e32 v11, s3
	v_add_co_u32_e32 v2, vcc, s2, v8
	v_addc_co_u32_e32 v8, vcc, v11, v9, vcc
	v_lshlrev_b64 v[9:10], 2, v[3:4]
	v_add_co_u32_e32 v9, vcc, s2, v9
	v_addc_co_u32_e32 v10, vcc, v11, v10, vcc
	s_mov_b64 s[2:3], 0
.LBB17_3:                               ; =>This Inner Loop Header: Depth=1
	v_add_u32_e32 v3, v7, v5
	v_lshrrev_b32_e32 v3, 1, v3
	v_lshlrev_b64 v[13:14], 2, v[3:4]
	v_mov_b32_e32 v12, v4
	v_xad_u32 v11, v3, -1, v6
	v_lshlrev_b64 v[11:12], 2, v[11:12]
	v_add_co_u32_e32 v13, vcc, v2, v13
	v_addc_co_u32_e32 v14, vcc, v8, v14, vcc
	v_add_co_u32_e32 v11, vcc, v9, v11
	v_addc_co_u32_e32 v12, vcc, v10, v12, vcc
	global_load_dword v15, v[13:14], off
	global_load_dword v16, v[11:12], off
	v_add_u32_e32 v11, 1, v3
	s_waitcnt vmcnt(0)
	v_cmp_gt_i32_e32 vcc, v15, v16
	v_cndmask_b32_e32 v7, v7, v3, vcc
	v_cndmask_b32_e32 v5, v11, v5, vcc
	v_cmp_ge_u32_e32 vcc, v5, v7
	s_or_b64 s[2:3], vcc, s[2:3]
	s_andn2_b64 exec, exec, s[2:3]
	s_cbranch_execnz .LBB17_3
; %bb.4:
	s_or_b64 exec, exec, s[2:3]
.LBB17_5:
	s_or_b64 exec, exec, s[0:1]
	s_load_dwordx2 s[0:1], s[4:5], 0x10
	v_add_u32_e32 v2, v5, v1
	v_mov_b32_e32 v1, 0
	v_lshlrev_b64 v[0:1], 2, v[0:1]
	s_waitcnt lgkmcnt(0)
	v_mov_b32_e32 v3, s1
	v_add_co_u32_e32 v0, vcc, s0, v0
	v_addc_co_u32_e32 v1, vcc, v3, v1, vcc
	global_store_dword v[0:1], v2, off
.LBB17_6:
	s_endpgm
	.section	.rodata,"a",@progbits
	.p2align	6, 0x0
	.amdhsa_kernel _ZN7rocprim17ROCPRIM_304000_NS6detail45device_block_merge_mergepath_partition_kernelINS1_37wrapped_merge_sort_block_merge_configINS0_14default_configEiN2at4cuda3cub6detail10OpaqueTypeILi2EEEEEPijNS1_19radix_merge_compareILb0ELb0EiNS0_19identity_decomposerEEEEEvT0_T1_jPSH_T2_SH_
		.amdhsa_group_segment_fixed_size 0
		.amdhsa_private_segment_fixed_size 0
		.amdhsa_kernarg_size 32
		.amdhsa_user_sgpr_count 6
		.amdhsa_user_sgpr_private_segment_buffer 1
		.amdhsa_user_sgpr_dispatch_ptr 0
		.amdhsa_user_sgpr_queue_ptr 0
		.amdhsa_user_sgpr_kernarg_segment_ptr 1
		.amdhsa_user_sgpr_dispatch_id 0
		.amdhsa_user_sgpr_flat_scratch_init 0
		.amdhsa_user_sgpr_private_segment_size 0
		.amdhsa_uses_dynamic_stack 0
		.amdhsa_system_sgpr_private_segment_wavefront_offset 0
		.amdhsa_system_sgpr_workgroup_id_x 1
		.amdhsa_system_sgpr_workgroup_id_y 0
		.amdhsa_system_sgpr_workgroup_id_z 0
		.amdhsa_system_sgpr_workgroup_info 0
		.amdhsa_system_vgpr_workitem_id 0
		.amdhsa_next_free_vgpr 17
		.amdhsa_next_free_sgpr 7
		.amdhsa_reserve_vcc 1
		.amdhsa_reserve_flat_scratch 0
		.amdhsa_float_round_mode_32 0
		.amdhsa_float_round_mode_16_64 0
		.amdhsa_float_denorm_mode_32 3
		.amdhsa_float_denorm_mode_16_64 3
		.amdhsa_dx10_clamp 1
		.amdhsa_ieee_mode 1
		.amdhsa_fp16_overflow 0
		.amdhsa_exception_fp_ieee_invalid_op 0
		.amdhsa_exception_fp_denorm_src 0
		.amdhsa_exception_fp_ieee_div_zero 0
		.amdhsa_exception_fp_ieee_overflow 0
		.amdhsa_exception_fp_ieee_underflow 0
		.amdhsa_exception_fp_ieee_inexact 0
		.amdhsa_exception_int_div_zero 0
	.end_amdhsa_kernel
	.section	.text._ZN7rocprim17ROCPRIM_304000_NS6detail45device_block_merge_mergepath_partition_kernelINS1_37wrapped_merge_sort_block_merge_configINS0_14default_configEiN2at4cuda3cub6detail10OpaqueTypeILi2EEEEEPijNS1_19radix_merge_compareILb0ELb0EiNS0_19identity_decomposerEEEEEvT0_T1_jPSH_T2_SH_,"axG",@progbits,_ZN7rocprim17ROCPRIM_304000_NS6detail45device_block_merge_mergepath_partition_kernelINS1_37wrapped_merge_sort_block_merge_configINS0_14default_configEiN2at4cuda3cub6detail10OpaqueTypeILi2EEEEEPijNS1_19radix_merge_compareILb0ELb0EiNS0_19identity_decomposerEEEEEvT0_T1_jPSH_T2_SH_,comdat
.Lfunc_end17:
	.size	_ZN7rocprim17ROCPRIM_304000_NS6detail45device_block_merge_mergepath_partition_kernelINS1_37wrapped_merge_sort_block_merge_configINS0_14default_configEiN2at4cuda3cub6detail10OpaqueTypeILi2EEEEEPijNS1_19radix_merge_compareILb0ELb0EiNS0_19identity_decomposerEEEEEvT0_T1_jPSH_T2_SH_, .Lfunc_end17-_ZN7rocprim17ROCPRIM_304000_NS6detail45device_block_merge_mergepath_partition_kernelINS1_37wrapped_merge_sort_block_merge_configINS0_14default_configEiN2at4cuda3cub6detail10OpaqueTypeILi2EEEEEPijNS1_19radix_merge_compareILb0ELb0EiNS0_19identity_decomposerEEEEEvT0_T1_jPSH_T2_SH_
                                        ; -- End function
	.set _ZN7rocprim17ROCPRIM_304000_NS6detail45device_block_merge_mergepath_partition_kernelINS1_37wrapped_merge_sort_block_merge_configINS0_14default_configEiN2at4cuda3cub6detail10OpaqueTypeILi2EEEEEPijNS1_19radix_merge_compareILb0ELb0EiNS0_19identity_decomposerEEEEEvT0_T1_jPSH_T2_SH_.num_vgpr, 17
	.set _ZN7rocprim17ROCPRIM_304000_NS6detail45device_block_merge_mergepath_partition_kernelINS1_37wrapped_merge_sort_block_merge_configINS0_14default_configEiN2at4cuda3cub6detail10OpaqueTypeILi2EEEEEPijNS1_19radix_merge_compareILb0ELb0EiNS0_19identity_decomposerEEEEEvT0_T1_jPSH_T2_SH_.num_agpr, 0
	.set _ZN7rocprim17ROCPRIM_304000_NS6detail45device_block_merge_mergepath_partition_kernelINS1_37wrapped_merge_sort_block_merge_configINS0_14default_configEiN2at4cuda3cub6detail10OpaqueTypeILi2EEEEEPijNS1_19radix_merge_compareILb0ELb0EiNS0_19identity_decomposerEEEEEvT0_T1_jPSH_T2_SH_.numbered_sgpr, 7
	.set _ZN7rocprim17ROCPRIM_304000_NS6detail45device_block_merge_mergepath_partition_kernelINS1_37wrapped_merge_sort_block_merge_configINS0_14default_configEiN2at4cuda3cub6detail10OpaqueTypeILi2EEEEEPijNS1_19radix_merge_compareILb0ELb0EiNS0_19identity_decomposerEEEEEvT0_T1_jPSH_T2_SH_.num_named_barrier, 0
	.set _ZN7rocprim17ROCPRIM_304000_NS6detail45device_block_merge_mergepath_partition_kernelINS1_37wrapped_merge_sort_block_merge_configINS0_14default_configEiN2at4cuda3cub6detail10OpaqueTypeILi2EEEEEPijNS1_19radix_merge_compareILb0ELb0EiNS0_19identity_decomposerEEEEEvT0_T1_jPSH_T2_SH_.private_seg_size, 0
	.set _ZN7rocprim17ROCPRIM_304000_NS6detail45device_block_merge_mergepath_partition_kernelINS1_37wrapped_merge_sort_block_merge_configINS0_14default_configEiN2at4cuda3cub6detail10OpaqueTypeILi2EEEEEPijNS1_19radix_merge_compareILb0ELb0EiNS0_19identity_decomposerEEEEEvT0_T1_jPSH_T2_SH_.uses_vcc, 1
	.set _ZN7rocprim17ROCPRIM_304000_NS6detail45device_block_merge_mergepath_partition_kernelINS1_37wrapped_merge_sort_block_merge_configINS0_14default_configEiN2at4cuda3cub6detail10OpaqueTypeILi2EEEEEPijNS1_19radix_merge_compareILb0ELb0EiNS0_19identity_decomposerEEEEEvT0_T1_jPSH_T2_SH_.uses_flat_scratch, 0
	.set _ZN7rocprim17ROCPRIM_304000_NS6detail45device_block_merge_mergepath_partition_kernelINS1_37wrapped_merge_sort_block_merge_configINS0_14default_configEiN2at4cuda3cub6detail10OpaqueTypeILi2EEEEEPijNS1_19radix_merge_compareILb0ELb0EiNS0_19identity_decomposerEEEEEvT0_T1_jPSH_T2_SH_.has_dyn_sized_stack, 0
	.set _ZN7rocprim17ROCPRIM_304000_NS6detail45device_block_merge_mergepath_partition_kernelINS1_37wrapped_merge_sort_block_merge_configINS0_14default_configEiN2at4cuda3cub6detail10OpaqueTypeILi2EEEEEPijNS1_19radix_merge_compareILb0ELb0EiNS0_19identity_decomposerEEEEEvT0_T1_jPSH_T2_SH_.has_recursion, 0
	.set _ZN7rocprim17ROCPRIM_304000_NS6detail45device_block_merge_mergepath_partition_kernelINS1_37wrapped_merge_sort_block_merge_configINS0_14default_configEiN2at4cuda3cub6detail10OpaqueTypeILi2EEEEEPijNS1_19radix_merge_compareILb0ELb0EiNS0_19identity_decomposerEEEEEvT0_T1_jPSH_T2_SH_.has_indirect_call, 0
	.section	.AMDGPU.csdata,"",@progbits
; Kernel info:
; codeLenInByte = 364
; TotalNumSgprs: 11
; NumVgprs: 17
; ScratchSize: 0
; MemoryBound: 0
; FloatMode: 240
; IeeeMode: 1
; LDSByteSize: 0 bytes/workgroup (compile time only)
; SGPRBlocks: 1
; VGPRBlocks: 4
; NumSGPRsForWavesPerEU: 11
; NumVGPRsForWavesPerEU: 17
; Occupancy: 10
; WaveLimiterHint : 0
; COMPUTE_PGM_RSRC2:SCRATCH_EN: 0
; COMPUTE_PGM_RSRC2:USER_SGPR: 6
; COMPUTE_PGM_RSRC2:TRAP_HANDLER: 0
; COMPUTE_PGM_RSRC2:TGID_X_EN: 1
; COMPUTE_PGM_RSRC2:TGID_Y_EN: 0
; COMPUTE_PGM_RSRC2:TGID_Z_EN: 0
; COMPUTE_PGM_RSRC2:TIDIG_COMP_CNT: 0
	.section	.text._ZN7rocprim17ROCPRIM_304000_NS6detail35device_block_merge_mergepath_kernelINS1_37wrapped_merge_sort_block_merge_configINS0_14default_configEiN2at4cuda3cub6detail10OpaqueTypeILi2EEEEEPiSC_PSA_SD_jNS1_19radix_merge_compareILb0ELb0EiNS0_19identity_decomposerEEEEEvT0_T1_T2_T3_T4_SL_jT5_PKSL_NS1_7vsmem_tE,"axG",@progbits,_ZN7rocprim17ROCPRIM_304000_NS6detail35device_block_merge_mergepath_kernelINS1_37wrapped_merge_sort_block_merge_configINS0_14default_configEiN2at4cuda3cub6detail10OpaqueTypeILi2EEEEEPiSC_PSA_SD_jNS1_19radix_merge_compareILb0ELb0EiNS0_19identity_decomposerEEEEEvT0_T1_T2_T3_T4_SL_jT5_PKSL_NS1_7vsmem_tE,comdat
	.protected	_ZN7rocprim17ROCPRIM_304000_NS6detail35device_block_merge_mergepath_kernelINS1_37wrapped_merge_sort_block_merge_configINS0_14default_configEiN2at4cuda3cub6detail10OpaqueTypeILi2EEEEEPiSC_PSA_SD_jNS1_19radix_merge_compareILb0ELb0EiNS0_19identity_decomposerEEEEEvT0_T1_T2_T3_T4_SL_jT5_PKSL_NS1_7vsmem_tE ; -- Begin function _ZN7rocprim17ROCPRIM_304000_NS6detail35device_block_merge_mergepath_kernelINS1_37wrapped_merge_sort_block_merge_configINS0_14default_configEiN2at4cuda3cub6detail10OpaqueTypeILi2EEEEEPiSC_PSA_SD_jNS1_19radix_merge_compareILb0ELb0EiNS0_19identity_decomposerEEEEEvT0_T1_T2_T3_T4_SL_jT5_PKSL_NS1_7vsmem_tE
	.globl	_ZN7rocprim17ROCPRIM_304000_NS6detail35device_block_merge_mergepath_kernelINS1_37wrapped_merge_sort_block_merge_configINS0_14default_configEiN2at4cuda3cub6detail10OpaqueTypeILi2EEEEEPiSC_PSA_SD_jNS1_19radix_merge_compareILb0ELb0EiNS0_19identity_decomposerEEEEEvT0_T1_T2_T3_T4_SL_jT5_PKSL_NS1_7vsmem_tE
	.p2align	8
	.type	_ZN7rocprim17ROCPRIM_304000_NS6detail35device_block_merge_mergepath_kernelINS1_37wrapped_merge_sort_block_merge_configINS0_14default_configEiN2at4cuda3cub6detail10OpaqueTypeILi2EEEEEPiSC_PSA_SD_jNS1_19radix_merge_compareILb0ELb0EiNS0_19identity_decomposerEEEEEvT0_T1_T2_T3_T4_SL_jT5_PKSL_NS1_7vsmem_tE,@function
_ZN7rocprim17ROCPRIM_304000_NS6detail35device_block_merge_mergepath_kernelINS1_37wrapped_merge_sort_block_merge_configINS0_14default_configEiN2at4cuda3cub6detail10OpaqueTypeILi2EEEEEPiSC_PSA_SD_jNS1_19radix_merge_compareILb0ELb0EiNS0_19identity_decomposerEEEEEvT0_T1_T2_T3_T4_SL_jT5_PKSL_NS1_7vsmem_tE: ; @_ZN7rocprim17ROCPRIM_304000_NS6detail35device_block_merge_mergepath_kernelINS1_37wrapped_merge_sort_block_merge_configINS0_14default_configEiN2at4cuda3cub6detail10OpaqueTypeILi2EEEEEPiSC_PSA_SD_jNS1_19radix_merge_compareILb0ELb0EiNS0_19identity_decomposerEEEEEvT0_T1_T2_T3_T4_SL_jT5_PKSL_NS1_7vsmem_tE
; %bb.0:
	s_load_dwordx2 s[10:11], s[4:5], 0x40
	s_load_dwordx4 s[20:23], s[4:5], 0x20
	s_add_u32 s2, s4, 64
	s_addc_u32 s3, s5, 0
	s_waitcnt lgkmcnt(0)
	s_mul_i32 s0, s11, s8
	s_add_i32 s0, s0, s7
	s_mul_i32 s0, s0, s10
	s_add_i32 s0, s0, s6
	s_cmp_ge_u32 s0, s22
	s_cbranch_scc1 .LBB18_105
; %bb.1:
	s_load_dwordx8 s[12:19], s[4:5], 0x0
	s_load_dwordx2 s[8:9], s[4:5], 0x30
	s_lshr_b32 s11, s20, 10
	s_cmp_lg_u32 s0, s11
	s_mov_b32 s1, 0
	s_cselect_b64 s[24:25], -1, 0
	s_lshl_b64 s[4:5], s[0:1], 2
	s_waitcnt lgkmcnt(0)
	s_add_u32 s4, s8, s4
	s_addc_u32 s5, s9, s5
	s_load_dwordx2 s[26:27], s[4:5], 0x0
	s_lshr_b32 s4, s21, 9
	s_and_b32 s4, s4, 0x7ffffe
	s_sub_i32 s4, 0, s4
	s_and_b32 s5, s0, s4
	s_lshl_b32 s7, s5, 10
	s_lshl_b32 s22, s0, 10
	;; [unrolled: 1-line block ×3, first 2 shown]
	s_sub_i32 s8, s22, s7
	s_add_i32 s5, s5, s21
	s_add_i32 s8, s5, s8
	s_waitcnt lgkmcnt(0)
	s_sub_i32 s9, s8, s26
	s_sub_i32 s8, s8, s27
	;; [unrolled: 1-line block ×3, first 2 shown]
	s_min_u32 s28, s20, s9
	s_addk_i32 s8, 0x400
	s_or_b32 s4, s0, s4
	s_min_u32 s7, s20, s5
	s_add_i32 s5, s5, s21
	s_cmp_eq_u32 s4, -1
	s_cselect_b32 s4, s5, s8
	s_cselect_b32 s5, s7, s27
	s_min_u32 s4, s4, s20
	s_mov_b32 s27, s1
	s_sub_i32 s23, s5, s26
	s_sub_i32 s33, s4, s28
	s_lshl_b64 s[8:9], s[26:27], 2
	s_add_u32 s5, s12, s8
	s_mov_b32 s29, s1
	s_addc_u32 s7, s13, s9
	s_lshl_b64 s[8:9], s[28:29], 2
	s_add_u32 s4, s12, s8
	v_mov_b32_e32 v10, 0
	global_load_dword v1, v10, s[2:3] offset:14
	s_addc_u32 s8, s13, s9
	s_cmp_lt_u32 s6, s10
	s_cselect_b32 s1, 12, 18
	s_add_u32 s2, s2, s1
	s_addc_u32 s3, s3, 0
	global_load_ushort v2, v10, s[2:3]
	s_cmp_eq_u32 s0, s11
	v_cmp_gt_u32_e32 vcc, s23, v0
	v_lshlrev_b32_e32 v13, 2, v0
	s_waitcnt vmcnt(1)
	v_lshrrev_b32_e32 v3, 16, v1
	v_and_b32_e32 v1, 0xffff, v1
	v_mul_lo_u32 v1, v1, v3
	s_waitcnt vmcnt(0)
	v_mul_lo_u32 v11, v1, v2
	v_add_u32_e32 v9, v11, v0
	s_cbranch_scc1 .LBB18_3
; %bb.2:
	v_mov_b32_e32 v1, s7
	v_add_co_u32_e64 v3, s[0:1], s5, v13
	v_subrev_u32_e32 v2, s23, v0
	v_addc_co_u32_e64 v1, s[0:1], 0, v1, s[0:1]
	v_lshlrev_b32_e32 v2, 2, v2
	v_mov_b32_e32 v4, s8
	v_add_co_u32_e64 v5, s[0:1], s4, v2
	v_addc_co_u32_e64 v2, s[0:1], 0, v4, s[0:1]
	v_cndmask_b32_e32 v2, v2, v1, vcc
	v_cndmask_b32_e32 v1, v5, v3, vcc
	global_load_dword v1, v[1:2], off
	v_lshlrev_b64 v[2:3], 2, v[9:10]
	v_mov_b32_e32 v4, s7
	v_add_co_u32_e32 v5, vcc, s5, v2
	v_addc_co_u32_e32 v4, vcc, v4, v3, vcc
	v_subrev_co_u32_e32 v2, vcc, s23, v9
	v_mov_b32_e32 v3, v10
	v_lshlrev_b64 v[2:3], 2, v[2:3]
	v_mov_b32_e32 v6, s8
	v_add_co_u32_e64 v2, s[0:1], s4, v2
	v_addc_co_u32_e64 v3, s[0:1], v6, v3, s[0:1]
	v_cndmask_b32_e32 v3, v3, v4, vcc
	v_cndmask_b32_e32 v2, v2, v5, vcc
	v_add_u32_e32 v4, v9, v11
	v_mov_b32_e32 v5, v10
	v_lshlrev_b64 v[5:6], 2, v[4:5]
	global_load_dword v2, v[2:3], off
	v_mov_b32_e32 v3, s7
	v_add_co_u32_e32 v7, vcc, s5, v5
	v_addc_co_u32_e32 v3, vcc, v3, v6, vcc
	v_subrev_co_u32_e32 v5, vcc, s23, v4
	v_mov_b32_e32 v6, v10
	v_lshlrev_b64 v[5:6], 2, v[5:6]
	v_mov_b32_e32 v8, s8
	v_add_co_u32_e64 v5, s[0:1], s4, v5
	v_addc_co_u32_e64 v6, s[0:1], v8, v6, s[0:1]
	v_cndmask_b32_e32 v6, v6, v3, vcc
	v_cndmask_b32_e32 v5, v5, v7, vcc
	global_load_dword v3, v[5:6], off
	v_add_u32_e32 v5, v4, v11
	v_mov_b32_e32 v6, v10
	v_lshlrev_b64 v[6:7], 2, v[5:6]
	v_mov_b32_e32 v4, s7
	v_add_co_u32_e32 v8, vcc, s5, v6
	v_addc_co_u32_e32 v4, vcc, v4, v7, vcc
	v_subrev_co_u32_e32 v6, vcc, s23, v5
	v_mov_b32_e32 v7, v10
	v_lshlrev_b64 v[6:7], 2, v[6:7]
	v_mov_b32_e32 v12, s8
	v_add_co_u32_e64 v6, s[0:1], s4, v6
	v_addc_co_u32_e64 v7, s[0:1], v12, v7, s[0:1]
	v_cndmask_b32_e32 v7, v7, v4, vcc
	v_cndmask_b32_e32 v6, v6, v8, vcc
	global_load_dword v4, v[6:7], off
	v_add_u32_e32 v6, v5, v11
	v_mov_b32_e32 v7, v10
	v_lshlrev_b64 v[7:8], 2, v[6:7]
	;; [unrolled: 15-line block ×4, first 2 shown]
	v_mov_b32_e32 v12, s7
	v_add_co_u32_e32 v15, vcc, s5, v7
	v_addc_co_u32_e32 v12, vcc, v12, v8, vcc
	v_subrev_co_u32_e32 v7, vcc, s23, v14
	v_mov_b32_e32 v8, v10
	v_lshlrev_b64 v[7:8], 2, v[7:8]
	v_mov_b32_e32 v16, s8
	v_add_co_u32_e64 v7, s[0:1], s4, v7
	v_cndmask_b32_e32 v7, v7, v15, vcc
	v_add_u32_e32 v14, v14, v11
	v_mov_b32_e32 v15, v10
	v_addc_co_u32_e64 v8, s[0:1], v16, v8, s[0:1]
	v_lshlrev_b64 v[15:16], 2, v[14:15]
	v_cndmask_b32_e32 v8, v8, v12, vcc
	global_load_dword v7, v[7:8], off
	v_mov_b32_e32 v8, s7
	v_add_co_u32_e32 v12, vcc, s5, v15
	v_addc_co_u32_e32 v8, vcc, v8, v16, vcc
	v_subrev_co_u32_e32 v14, vcc, s23, v14
	v_mov_b32_e32 v15, v10
	v_lshlrev_b64 v[14:15], 2, v[14:15]
	v_mov_b32_e32 v10, s8
	v_add_co_u32_e64 v14, s[0:1], s4, v14
	v_addc_co_u32_e64 v10, s[0:1], v10, v15, s[0:1]
	v_cndmask_b32_e32 v15, v10, v8, vcc
	v_cndmask_b32_e32 v14, v14, v12, vcc
	global_load_dword v8, v[14:15], off
	s_add_i32 s21, s33, s23
	s_cbranch_execz .LBB18_4
	s_branch .LBB18_21
.LBB18_3:
                                        ; implicit-def: $vgpr1_vgpr2_vgpr3_vgpr4_vgpr5_vgpr6_vgpr7_vgpr8
                                        ; implicit-def: $sgpr21
.LBB18_4:
	s_add_i32 s21, s33, s23
	s_waitcnt vmcnt(7)
	v_mov_b32_e32 v1, 0
	v_cmp_gt_u32_e32 vcc, s21, v0
	s_waitcnt vmcnt(6)
	v_mov_b32_e32 v2, v1
	s_waitcnt vmcnt(5)
	v_mov_b32_e32 v3, v1
	;; [unrolled: 2-line block ×7, first 2 shown]
	s_and_saveexec_b64 s[0:1], vcc
	s_cbranch_execz .LBB18_6
; %bb.5:
	v_mov_b32_e32 v2, s7
	v_add_co_u32_e32 v4, vcc, s5, v13
	v_subrev_u32_e32 v3, s23, v0
	v_addc_co_u32_e32 v2, vcc, 0, v2, vcc
	v_lshlrev_b32_e32 v3, 2, v3
	v_mov_b32_e32 v5, s8
	v_add_co_u32_e32 v6, vcc, s4, v3
	v_addc_co_u32_e32 v3, vcc, 0, v5, vcc
	v_cmp_gt_u32_e32 vcc, s23, v0
	v_cndmask_b32_e32 v3, v3, v2, vcc
	v_cndmask_b32_e32 v2, v6, v4, vcc
	global_load_dword v14, v[2:3], off
	v_mov_b32_e32 v15, v1
	v_mov_b32_e32 v16, v1
	v_mov_b32_e32 v17, v1
	v_mov_b32_e32 v18, v1
	v_mov_b32_e32 v19, v1
	v_mov_b32_e32 v20, v1
	v_mov_b32_e32 v21, v1
	s_waitcnt vmcnt(0)
	v_mov_b32_e32 v1, v14
	v_mov_b32_e32 v2, v15
	v_mov_b32_e32 v3, v16
	v_mov_b32_e32 v4, v17
	v_mov_b32_e32 v5, v18
	v_mov_b32_e32 v6, v19
	v_mov_b32_e32 v7, v20
	v_mov_b32_e32 v8, v21
.LBB18_6:
	s_or_b64 exec, exec, s[0:1]
	v_cmp_gt_u32_e32 vcc, s21, v9
	s_and_saveexec_b64 s[2:3], vcc
	s_cbranch_execz .LBB18_8
; %bb.7:
	v_mov_b32_e32 v10, 0
	v_lshlrev_b64 v[14:15], 2, v[9:10]
	v_mov_b32_e32 v2, s7
	v_add_co_u32_e32 v12, vcc, s5, v14
	v_addc_co_u32_e32 v2, vcc, v2, v15, vcc
	v_subrev_co_u32_e32 v14, vcc, s23, v9
	v_mov_b32_e32 v15, v10
	v_lshlrev_b64 v[14:15], 2, v[14:15]
	v_mov_b32_e32 v10, s8
	v_add_co_u32_e64 v14, s[0:1], s4, v14
	v_addc_co_u32_e64 v10, s[0:1], v10, v15, s[0:1]
	v_cndmask_b32_e32 v15, v10, v2, vcc
	v_cndmask_b32_e32 v14, v14, v12, vcc
	global_load_dword v2, v[14:15], off
.LBB18_8:
	s_or_b64 exec, exec, s[2:3]
	v_add_u32_e32 v9, v9, v11
	v_cmp_gt_u32_e32 vcc, s21, v9
	s_and_saveexec_b64 s[2:3], vcc
	s_cbranch_execz .LBB18_10
; %bb.9:
	v_mov_b32_e32 v10, 0
	v_lshlrev_b64 v[14:15], 2, v[9:10]
	v_mov_b32_e32 v3, s7
	v_add_co_u32_e32 v12, vcc, s5, v14
	v_addc_co_u32_e32 v3, vcc, v3, v15, vcc
	v_subrev_co_u32_e32 v14, vcc, s23, v9
	v_mov_b32_e32 v15, v10
	v_lshlrev_b64 v[14:15], 2, v[14:15]
	v_mov_b32_e32 v10, s8
	v_add_co_u32_e64 v14, s[0:1], s4, v14
	v_addc_co_u32_e64 v10, s[0:1], v10, v15, s[0:1]
	v_cndmask_b32_e32 v15, v10, v3, vcc
	v_cndmask_b32_e32 v14, v14, v12, vcc
	global_load_dword v3, v[14:15], off
.LBB18_10:
	s_or_b64 exec, exec, s[2:3]
	v_add_u32_e32 v9, v9, v11
	;; [unrolled: 21-line block ×6, first 2 shown]
	v_cmp_gt_u32_e32 vcc, s21, v9
	s_and_saveexec_b64 s[2:3], vcc
	s_cbranch_execz .LBB18_20
; %bb.19:
	v_mov_b32_e32 v10, 0
	v_lshlrev_b64 v[11:12], 2, v[9:10]
	v_mov_b32_e32 v8, s7
	v_add_co_u32_e32 v11, vcc, s5, v11
	v_addc_co_u32_e32 v12, vcc, v8, v12, vcc
	v_subrev_co_u32_e32 v9, vcc, s23, v9
	v_lshlrev_b64 v[8:9], 2, v[9:10]
	v_mov_b32_e32 v10, s8
	v_add_co_u32_e64 v8, s[0:1], s4, v8
	v_addc_co_u32_e64 v9, s[0:1], v10, v9, s[0:1]
	v_cndmask_b32_e32 v9, v9, v12, vcc
	v_cndmask_b32_e32 v8, v8, v11, vcc
	global_load_dword v8, v[8:9], off
.LBB18_20:
	s_or_b64 exec, exec, s[2:3]
.LBB18_21:
	v_lshlrev_b32_e32 v14, 3, v0
	v_min_u32_e32 v10, s21, v14
	v_sub_u32_e64 v9, v10, s33 clamp
	v_min_u32_e32 v11, s23, v10
	v_cmp_lt_u32_e32 vcc, v9, v11
	s_waitcnt vmcnt(0)
	ds_write2st64_b32 v13, v1, v2 offset1:2
	ds_write2st64_b32 v13, v3, v4 offset0:4 offset1:6
	ds_write2st64_b32 v13, v5, v6 offset0:8 offset1:10
	;; [unrolled: 1-line block ×3, first 2 shown]
	s_waitcnt lgkmcnt(0)
	s_barrier
	s_and_saveexec_b64 s[0:1], vcc
	s_cbranch_execz .LBB18_25
; %bb.22:
	v_lshlrev_b32_e32 v12, 2, v10
	v_lshl_add_u32 v12, s23, 2, v12
	s_mov_b64 s[2:3], 0
.LBB18_23:                              ; =>This Inner Loop Header: Depth=1
	v_add_u32_e32 v15, v11, v9
	v_lshrrev_b32_e32 v15, 1, v15
	v_not_b32_e32 v16, v15
	v_lshlrev_b32_e32 v17, 2, v15
	v_lshl_add_u32 v16, v16, 2, v12
	ds_read_b32 v17, v17
	ds_read_b32 v16, v16
	v_add_u32_e32 v18, 1, v15
	s_waitcnt lgkmcnt(0)
	v_cmp_gt_i32_e32 vcc, v17, v16
	v_cndmask_b32_e32 v11, v11, v15, vcc
	v_cndmask_b32_e32 v9, v18, v9, vcc
	v_cmp_ge_u32_e32 vcc, v9, v11
	s_or_b64 s[2:3], vcc, s[2:3]
	s_andn2_b64 exec, exec, s[2:3]
	s_cbranch_execnz .LBB18_23
; %bb.24:
	s_or_b64 exec, exec, s[2:3]
.LBB18_25:
	s_or_b64 exec, exec, s[0:1]
	v_sub_u32_e32 v10, v10, v9
	v_add_u32_e32 v10, s23, v10
	v_cmp_ge_u32_e32 vcc, s23, v9
	v_cmp_ge_u32_e64 s[0:1], s21, v10
	s_or_b64 s[0:1], vcc, s[0:1]
	v_mov_b32_e32 v15, 0
	v_mov_b32_e32 v16, 0
	;; [unrolled: 1-line block ×8, first 2 shown]
	s_and_saveexec_b64 s[30:31], s[0:1]
	s_cbranch_execz .LBB18_31
; %bb.26:
	v_cmp_gt_u32_e32 vcc, s23, v9
                                        ; implicit-def: $vgpr1
	s_and_saveexec_b64 s[0:1], vcc
; %bb.27:
	v_lshlrev_b32_e32 v1, 2, v9
	ds_read_b32 v1, v1
; %bb.28:
	s_or_b64 exec, exec, s[0:1]
	v_cmp_le_u32_e64 s[0:1], s21, v10
	v_cmp_gt_u32_e64 s[2:3], s21, v10
                                        ; implicit-def: $vgpr2
	s_and_saveexec_b64 s[4:5], s[2:3]
; %bb.29:
	v_lshlrev_b32_e32 v2, 2, v10
	ds_read_b32 v2, v2
; %bb.30:
	s_or_b64 exec, exec, s[4:5]
	s_waitcnt lgkmcnt(0)
	v_cmp_le_i32_e64 s[2:3], v1, v2
	s_and_b64 s[2:3], vcc, s[2:3]
	s_or_b64 vcc, s[0:1], s[2:3]
	v_mov_b32_e32 v4, s21
	v_mov_b32_e32 v5, s23
	v_cndmask_b32_e32 v22, v10, v9, vcc
	v_cndmask_b32_e32 v3, v4, v5, vcc
	v_add_u32_e32 v6, 1, v22
	v_add_u32_e32 v3, -1, v3
	v_min_u32_e32 v3, v6, v3
	v_lshlrev_b32_e32 v3, 2, v3
	ds_read_b32 v3, v3
	v_cndmask_b32_e32 v8, v6, v10, vcc
	v_cndmask_b32_e32 v6, v9, v6, vcc
	v_cmp_gt_u32_e64 s[2:3], s23, v6
	v_cmp_le_u32_e64 s[0:1], s21, v8
	s_waitcnt lgkmcnt(0)
	v_cndmask_b32_e32 v7, v3, v2, vcc
	v_cndmask_b32_e32 v3, v1, v3, vcc
	v_cmp_le_i32_e64 s[4:5], v3, v7
	s_and_b64 s[2:3], s[2:3], s[4:5]
	s_or_b64 s[0:1], s[0:1], s[2:3]
	v_cndmask_b32_e64 v21, v8, v6, s[0:1]
	v_cndmask_b32_e64 v9, v4, v5, s[0:1]
	v_add_u32_e32 v10, 1, v21
	v_add_u32_e32 v9, -1, v9
	v_min_u32_e32 v9, v10, v9
	v_lshlrev_b32_e32 v9, 2, v9
	ds_read_b32 v9, v9
	v_cndmask_b32_e64 v6, v6, v10, s[0:1]
	v_cndmask_b32_e64 v8, v10, v8, s[0:1]
	v_cmp_gt_u32_e64 s[4:5], s23, v6
	v_cmp_le_u32_e64 s[2:3], s21, v8
	s_waitcnt lgkmcnt(0)
	v_cndmask_b32_e64 v11, v9, v7, s[0:1]
	v_cndmask_b32_e64 v9, v3, v9, s[0:1]
	v_cmp_le_i32_e64 s[6:7], v9, v11
	s_and_b64 s[4:5], s[4:5], s[6:7]
	s_or_b64 s[2:3], s[2:3], s[4:5]
	v_cndmask_b32_e64 v20, v8, v6, s[2:3]
	v_cndmask_b32_e64 v10, v4, v5, s[2:3]
	v_add_u32_e32 v12, 1, v20
	v_add_u32_e32 v10, -1, v10
	v_min_u32_e32 v10, v12, v10
	v_lshlrev_b32_e32 v10, 2, v10
	ds_read_b32 v10, v10
	v_cndmask_b32_e64 v6, v6, v12, s[2:3]
	v_cndmask_b32_e64 v8, v12, v8, s[2:3]
	v_cmp_gt_u32_e64 s[6:7], s23, v6
	v_cmp_le_u32_e64 s[4:5], s21, v8
	s_waitcnt lgkmcnt(0)
	v_cndmask_b32_e64 v15, v10, v11, s[2:3]
	v_cndmask_b32_e64 v10, v9, v10, s[2:3]
	;; [unrolled: 17-line block ×4, first 2 shown]
	v_cmp_le_i32_e64 s[12:13], v25, v24
	s_and_b64 s[10:11], s[10:11], s[12:13]
	s_or_b64 s[8:9], s[8:9], s[10:11]
	v_cndmask_b32_e64 v17, v8, v6, s[8:9]
	v_cndmask_b32_e64 v16, v4, v5, s[8:9]
	v_add_u32_e32 v26, 1, v17
	v_add_u32_e32 v16, -1, v16
	v_min_u32_e32 v16, v26, v16
	v_lshlrev_b32_e32 v16, 2, v16
	ds_read_b32 v16, v16
	v_cndmask_b32_e32 v1, v2, v1, vcc
	v_cndmask_b32_e64 v2, v7, v3, s[0:1]
	v_cndmask_b32_e64 v3, v11, v9, s[2:3]
	;; [unrolled: 1-line block ×3, first 2 shown]
	s_waitcnt lgkmcnt(0)
	v_cndmask_b32_e64 v9, v16, v24, s[8:9]
	v_cndmask_b32_e64 v11, v25, v16, s[8:9]
	;; [unrolled: 1-line block ×3, first 2 shown]
	v_cmp_gt_u32_e64 s[0:1], s23, v26
	v_cmp_le_i32_e64 s[2:3], v11, v9
	v_cmp_le_u32_e32 vcc, s21, v8
	s_and_b64 s[0:1], s[0:1], s[2:3]
	s_or_b64 vcc, vcc, s[0:1]
	v_cndmask_b32_e32 v16, v8, v26, vcc
	v_cndmask_b32_e32 v4, v4, v5, vcc
	v_add_u32_e32 v27, 1, v16
	v_add_u32_e32 v4, -1, v4
	v_min_u32_e32 v4, v27, v4
	v_lshlrev_b32_e32 v4, 2, v4
	ds_read_b32 v28, v4
	v_cndmask_b32_e64 v4, v15, v10, s[4:5]
	v_cndmask_b32_e32 v7, v9, v11, vcc
	v_cndmask_b32_e32 v8, v27, v8, vcc
	v_cndmask_b32_e64 v5, v23, v12, s[6:7]
	s_waitcnt lgkmcnt(0)
	v_cndmask_b32_e32 v9, v28, v9, vcc
	v_cndmask_b32_e32 v10, v11, v28, vcc
	;; [unrolled: 1-line block ×3, first 2 shown]
	v_cmp_gt_u32_e64 s[0:1], s23, v11
	v_cmp_le_i32_e64 s[2:3], v10, v9
	v_cmp_le_u32_e32 vcc, s21, v8
	s_and_b64 s[0:1], s[0:1], s[2:3]
	s_or_b64 vcc, vcc, s[0:1]
	v_cndmask_b32_e64 v6, v24, v25, s[8:9]
	v_cndmask_b32_e32 v15, v8, v11, vcc
	v_cndmask_b32_e32 v8, v9, v10, vcc
.LBB18_31:
	s_or_b64 exec, exec, s[30:31]
	s_lshl_b64 s[0:1], s[26:27], 1
	s_add_u32 s8, s16, s0
	s_addc_u32 s9, s17, s1
	s_lshl_b64 s[0:1], s[28:29], 1
	s_add_u32 s6, s16, s0
	v_cndmask_b32_e64 v9, 0, 1, s[24:25]
	s_addc_u32 s7, s17, s1
	v_cmp_gt_u32_e64 s[4:5], s23, v0
	v_cmp_le_u32_e64 s[2:3], s23, v0
	v_cmp_ne_u32_e64 s[0:1], 1, v9
	s_andn2_b64 vcc, exec, s[24:25]
	v_lshlrev_b32_e32 v12, 1, v0
	s_barrier
	s_cbranch_vccnz .LBB18_33
; %bb.32:
	v_mov_b32_e32 v9, s9
	v_add_co_u32_e32 v11, vcc, s8, v12
	v_subrev_u32_e32 v10, s23, v0
	v_addc_co_u32_e32 v9, vcc, 0, v9, vcc
	v_lshlrev_b32_e32 v10, 1, v10
	v_mov_b32_e32 v23, s7
	v_add_co_u32_e32 v24, vcc, s6, v10
	v_addc_co_u32_e32 v10, vcc, 0, v23, vcc
	v_cndmask_b32_e64 v10, v10, v9, s[4:5]
	v_cndmask_b32_e64 v9, v24, v11, s[4:5]
	global_load_ushort v11, v[9:10], off
	v_or_b32_e32 v9, 0x80, v0
	v_subrev_u32_e32 v10, s23, v9
	v_min_u32_e32 v10, v9, v10
	v_cmp_gt_u32_e32 vcc, s23, v9
	v_mov_b32_e32 v26, s6
	v_mov_b32_e32 v27, s8
	;; [unrolled: 1-line block ×4, first 2 shown]
	v_cndmask_b32_e32 v9, v26, v27, vcc
	v_lshlrev_b32_e32 v10, 1, v10
	v_cndmask_b32_e32 v23, v24, v25, vcc
	v_add_co_u32_e32 v9, vcc, v9, v10
	v_addc_co_u32_e32 v10, vcc, 0, v23, vcc
	global_load_ushort v23, v[9:10], off
	v_or_b32_e32 v9, 0x100, v0
	v_subrev_u32_e32 v10, s23, v9
	v_min_u32_e32 v10, v9, v10
	v_cmp_gt_u32_e32 vcc, s23, v9
	v_cndmask_b32_e32 v9, v26, v27, vcc
	v_lshlrev_b32_e32 v10, 1, v10
	v_cndmask_b32_e32 v28, v24, v25, vcc
	v_add_co_u32_e32 v9, vcc, v9, v10
	v_addc_co_u32_e32 v10, vcc, 0, v28, vcc
	global_load_ushort v28, v[9:10], off
	v_or_b32_e32 v9, 0x180, v0
	v_subrev_u32_e32 v10, s23, v9
	v_min_u32_e32 v10, v9, v10
	v_cmp_gt_u32_e32 vcc, s23, v9
	;; [unrolled: 10-line block ×5, first 2 shown]
	v_cndmask_b32_e32 v9, v26, v27, vcc
	v_lshlrev_b32_e32 v10, 1, v10
	v_cndmask_b32_e32 v32, v24, v25, vcc
	v_add_co_u32_e32 v9, vcc, v9, v10
	v_addc_co_u32_e32 v10, vcc, 0, v32, vcc
	global_load_ushort v9, v[9:10], off
	s_mov_b64 s[4:5], -1
	s_waitcnt vmcnt(6)
	ds_write_b16 v12, v11
	s_waitcnt vmcnt(5)
	ds_write_b16 v12, v23 offset:256
	s_waitcnt vmcnt(4)
	ds_write_b16 v12, v28 offset:512
	s_waitcnt vmcnt(3)
	ds_write_b16 v12, v29 offset:768
	s_waitcnt vmcnt(2)
	ds_write_b16 v12, v30 offset:1024
	s_waitcnt vmcnt(1)
	ds_write_b16 v12, v31 offset:1280
	s_waitcnt vmcnt(0)
	ds_write_b16 v12, v9 offset:1536
	v_or_b32_e32 v23, 0x380, v0
	v_subrev_u32_e32 v9, s23, v23
	v_cmp_gt_u32_e32 vcc, s23, v23
	v_min_u32_e32 v11, v23, v9
	v_cndmask_b32_e32 v10, v24, v25, vcc
	v_cndmask_b32_e32 v9, v26, v27, vcc
	s_cbranch_execz .LBB18_34
	s_branch .LBB18_67
.LBB18_33:
	s_mov_b64 s[4:5], 0
                                        ; implicit-def: $vgpr23
                                        ; implicit-def: $vgpr9_vgpr10
                                        ; implicit-def: $vgpr11
.LBB18_34:
	s_and_saveexec_b64 s[4:5], s[2:3]
	s_xor_b64 s[2:3], exec, s[4:5]
	s_cbranch_execz .LBB18_38
; %bb.35:
	v_subrev_u32_e32 v9, s23, v0
	v_cmp_gt_u32_e32 vcc, s33, v9
	s_and_saveexec_b64 s[4:5], vcc
	s_cbranch_execz .LBB18_37
; %bb.36:
	v_lshlrev_b32_e32 v9, 1, v9
	global_load_ushort v9, v9, s[6:7]
	s_waitcnt vmcnt(0)
	ds_write_b16 v12, v9
.LBB18_37:
	s_or_b64 exec, exec, s[4:5]
.LBB18_38:
	s_andn2_saveexec_b64 s[2:3], s[2:3]
	s_cbranch_execz .LBB18_40
; %bb.39:
	global_load_ushort v9, v12, s[8:9]
	v_sub_u32_e32 v10, v13, v12
	s_waitcnt vmcnt(0)
	ds_write_b16 v10, v9
.LBB18_40:
	s_or_b64 exec, exec, s[2:3]
	v_or_b32_e32 v11, 0x80, v0
	v_mov_b32_e32 v9, s26
	v_cmp_le_u32_e32 vcc, s23, v11
	s_mov_b64 s[4:5], -1
	v_mov_b32_e32 v10, s27
	s_and_saveexec_b64 s[2:3], vcc
; %bb.41:
	v_subrev_u32_e32 v11, s23, v11
	v_cmp_gt_u32_e32 vcc, s33, v11
	v_mov_b32_e32 v9, s28
	v_mov_b32_e32 v10, s29
	s_orn2_b64 s[4:5], vcc, exec
; %bb.42:
	s_or_b64 exec, exec, s[2:3]
	s_and_saveexec_b64 s[2:3], s[4:5]
	s_cbranch_execz .LBB18_44
; %bb.43:
	v_lshlrev_b64 v[9:10], 1, v[9:10]
	v_mov_b32_e32 v23, s17
	v_add_co_u32_e32 v9, vcc, s16, v9
	v_addc_co_u32_e32 v10, vcc, v23, v10, vcc
	v_lshlrev_b32_e32 v11, 1, v11
	v_add_co_u32_e32 v9, vcc, v9, v11
	v_addc_co_u32_e32 v10, vcc, 0, v10, vcc
	global_load_ushort v9, v[9:10], off
	v_sub_u32_e32 v10, v13, v12
	s_waitcnt vmcnt(0)
	ds_write_b16 v10, v9 offset:256
.LBB18_44:
	s_or_b64 exec, exec, s[2:3]
	v_or_b32_e32 v11, 0x100, v0
	v_mov_b32_e32 v9, s26
	v_cmp_le_u32_e32 vcc, s23, v11
	s_mov_b64 s[4:5], -1
	v_mov_b32_e32 v10, s27
	s_and_saveexec_b64 s[2:3], vcc
; %bb.45:
	v_subrev_u32_e32 v11, s23, v11
	v_cmp_gt_u32_e32 vcc, s33, v11
	v_mov_b32_e32 v9, s28
	v_mov_b32_e32 v10, s29
	s_orn2_b64 s[4:5], vcc, exec
; %bb.46:
	s_or_b64 exec, exec, s[2:3]
	s_and_saveexec_b64 s[2:3], s[4:5]
	s_cbranch_execz .LBB18_48
; %bb.47:
	v_lshlrev_b64 v[9:10], 1, v[9:10]
	v_mov_b32_e32 v23, s17
	v_add_co_u32_e32 v9, vcc, s16, v9
	v_addc_co_u32_e32 v10, vcc, v23, v10, vcc
	v_lshlrev_b32_e32 v11, 1, v11
	v_add_co_u32_e32 v9, vcc, v9, v11
	v_addc_co_u32_e32 v10, vcc, 0, v10, vcc
	global_load_ushort v9, v[9:10], off
	v_sub_u32_e32 v10, v13, v12
	s_waitcnt vmcnt(0)
	ds_write_b16 v10, v9 offset:512
.LBB18_48:
	;; [unrolled: 30-line block ×5, first 2 shown]
	s_or_b64 exec, exec, s[2:3]
	v_or_b32_e32 v11, 0x300, v0
	v_mov_b32_e32 v9, s26
	v_cmp_le_u32_e32 vcc, s23, v11
	s_mov_b64 s[2:3], -1
	v_mov_b32_e32 v10, s27
	s_and_saveexec_b64 s[4:5], vcc
; %bb.61:
	v_subrev_u32_e32 v11, s23, v11
	v_cmp_gt_u32_e32 vcc, s33, v11
	v_mov_b32_e32 v9, s28
	v_mov_b32_e32 v10, s29
	s_orn2_b64 s[2:3], vcc, exec
; %bb.62:
	s_or_b64 exec, exec, s[4:5]
	s_and_saveexec_b64 s[4:5], s[2:3]
	s_cbranch_execz .LBB18_64
; %bb.63:
	v_lshlrev_b64 v[9:10], 1, v[9:10]
	v_mov_b32_e32 v23, s17
	v_add_co_u32_e32 v9, vcc, s16, v9
	v_addc_co_u32_e32 v10, vcc, v23, v10, vcc
	v_lshlrev_b32_e32 v11, 1, v11
	v_add_co_u32_e32 v9, vcc, v9, v11
	v_addc_co_u32_e32 v10, vcc, 0, v10, vcc
	global_load_ushort v9, v[9:10], off
	s_waitcnt vmcnt(0)
	ds_write_b16 v12, v9 offset:1536
.LBB18_64:
	s_or_b64 exec, exec, s[4:5]
	v_or_b32_e32 v23, 0x380, v0
	v_mov_b32_e32 v10, s9
	v_cmp_le_u32_e32 vcc, s23, v23
	s_mov_b64 s[4:5], -1
	v_mov_b32_e32 v9, s8
	v_mov_b32_e32 v11, v23
	s_and_saveexec_b64 s[2:3], vcc
; %bb.65:
	v_subrev_u32_e32 v11, s23, v23
	v_cmp_gt_u32_e32 vcc, s33, v11
	v_mov_b32_e32 v10, s7
	v_mov_b32_e32 v9, s6
	s_orn2_b64 s[4:5], vcc, exec
; %bb.66:
	s_or_b64 exec, exec, s[2:3]
.LBB18_67:
	s_and_saveexec_b64 s[2:3], s[4:5]
	s_cbranch_execz .LBB18_69
; %bb.68:
	v_mov_b32_e32 v12, 0
	v_lshlrev_b64 v[11:12], 1, v[11:12]
	v_add_co_u32_e32 v9, vcc, v9, v11
	v_addc_co_u32_e32 v10, vcc, v10, v12, vcc
	global_load_ushort v9, v[9:10], off
	v_lshlrev_b32_e32 v10, 1, v23
	s_waitcnt vmcnt(0)
	ds_write_b16 v10, v9
.LBB18_69:
	s_or_b64 exec, exec, s[2:3]
	s_and_b64 vcc, exec, s[0:1]
	v_add_u32_e32 v9, s22, v14
	s_waitcnt lgkmcnt(0)
	s_barrier
	s_cbranch_vccnz .LBB18_71
; %bb.70:
	v_mov_b32_e32 v10, 0
	v_lshlrev_b64 v[11:12], 1, v[9:10]
	v_mov_b32_e32 v24, s19
	v_add_co_u32_e32 v11, vcc, s18, v11
	v_lshlrev_b32_e32 v23, 1, v22
	v_addc_co_u32_e32 v12, vcc, v24, v12, vcc
	v_lshlrev_b32_e32 v24, 1, v21
	v_lshlrev_b32_e32 v25, 1, v20
	;; [unrolled: 1-line block ×6, first 2 shown]
	ds_read_u16 v23, v23
	ds_read_u16 v30, v24
	;; [unrolled: 1-line block ×7, first 2 shown]
	s_mov_b32 s0, 0x5040100
	s_waitcnt lgkmcnt(3)
	v_perm_b32 v24, v25, v24, s0
	v_perm_b32 v23, v30, v23, s0
	s_waitcnt lgkmcnt(1)
	v_perm_b32 v25, v27, v26, s0
	s_mov_b64 s[0:1], -1
	s_waitcnt lgkmcnt(0)
	global_store_short v[11:12], v28, off offset:12
	global_store_dwordx3 v[11:12], v[23:25], off
	s_cbranch_execz .LBB18_72
	s_branch .LBB18_89
.LBB18_71:
	s_mov_b64 s[0:1], 0
.LBB18_72:
	v_cmp_gt_u32_e32 vcc, s21, v14
	s_and_saveexec_b64 s[2:3], vcc
	s_cbranch_execz .LBB18_74
; %bb.73:
	v_lshlrev_b32_e32 v12, 1, v22
	v_mov_b32_e32 v10, 0
	ds_read_u16 v12, v12
	v_lshlrev_b64 v[10:11], 1, v[9:10]
	v_mov_b32_e32 v22, s19
	v_add_co_u32_e32 v10, vcc, s18, v10
	v_addc_co_u32_e32 v11, vcc, v22, v11, vcc
	s_waitcnt lgkmcnt(0)
	global_store_short v[10:11], v12, off
.LBB18_74:
	s_or_b64 exec, exec, s[2:3]
	v_or_b32_e32 v10, 1, v14
	v_cmp_gt_u32_e32 vcc, s21, v10
	s_and_saveexec_b64 s[2:3], vcc
	s_cbranch_execz .LBB18_76
; %bb.75:
	v_lshlrev_b32_e32 v12, 1, v21
	v_mov_b32_e32 v10, 0
	ds_read_u16 v12, v12
	v_lshlrev_b64 v[10:11], 1, v[9:10]
	v_mov_b32_e32 v21, s19
	v_add_co_u32_e32 v10, vcc, s18, v10
	v_addc_co_u32_e32 v11, vcc, v21, v11, vcc
	s_waitcnt lgkmcnt(0)
	global_store_short v[10:11], v12, off offset:2
.LBB18_76:
	s_or_b64 exec, exec, s[2:3]
	v_or_b32_e32 v10, 2, v14
	v_cmp_gt_u32_e32 vcc, s21, v10
	s_and_saveexec_b64 s[2:3], vcc
	s_cbranch_execz .LBB18_78
; %bb.77:
	v_lshlrev_b32_e32 v12, 1, v20
	v_mov_b32_e32 v10, 0
	ds_read_u16 v12, v12
	v_lshlrev_b64 v[10:11], 1, v[9:10]
	v_mov_b32_e32 v20, s19
	v_add_co_u32_e32 v10, vcc, s18, v10
	v_addc_co_u32_e32 v11, vcc, v20, v11, vcc
	s_waitcnt lgkmcnt(0)
	global_store_short v[10:11], v12, off offset:4
.LBB18_78:
	;; [unrolled: 16-line block ×6, first 2 shown]
	s_or_b64 exec, exec, s[2:3]
	v_or_b32_e32 v10, 7, v14
	v_cmp_gt_u32_e32 vcc, s21, v10
	s_and_saveexec_b64 s[2:3], vcc
; %bb.87:
	v_mov_b32_e32 v10, 0
	s_or_b64 s[0:1], s[0:1], exec
; %bb.88:
	s_or_b64 exec, exec, s[2:3]
.LBB18_89:
	s_and_saveexec_b64 s[2:3], s[0:1]
	s_cbranch_execz .LBB18_91
; %bb.90:
	v_lshlrev_b32_e32 v11, 1, v15
	ds_read_u16 v11, v11
	v_lshlrev_b64 v[9:10], 1, v[9:10]
	v_mov_b32_e32 v12, s19
	v_add_co_u32_e32 v9, vcc, s18, v9
	v_addc_co_u32_e32 v10, vcc, v12, v10, vcc
	s_waitcnt lgkmcnt(0)
	global_store_short v[9:10], v11, off offset:14
.LBB18_91:
	s_or_b64 exec, exec, s[2:3]
	v_and_b32_e32 v9, 0x7c, v0
	v_lshl_add_u32 v9, v14, 2, v9
	s_waitcnt vmcnt(0)
	s_barrier
	s_barrier
	ds_write2_b32 v9, v1, v2 offset1:1
	ds_write2_b32 v9, v3, v4 offset0:2 offset1:3
	ds_write2_b32 v9, v5, v6 offset0:4 offset1:5
	;; [unrolled: 1-line block ×3, first 2 shown]
	v_lshrrev_b32_e32 v1, 3, v0
	v_and_b32_e32 v1, 12, v1
	v_or_b32_e32 v10, 0x80, v0
	v_add_u32_e32 v11, v1, v13
	v_lshrrev_b32_e32 v1, 3, v10
	v_and_b32_e32 v1, 28, v1
	v_or_b32_e32 v9, 0x100, v0
	v_add_u32_e32 v12, v1, v13
	;; [unrolled: 4-line block ×5, first 2 shown]
	v_lshrrev_b32_e32 v1, 3, v5
	v_and_b32_e32 v1, 0x5c, v1
	v_or_b32_e32 v4, 0x300, v0
	s_mov_b32 s23, 0
	v_add_u32_e32 v17, v1, v13
	v_lshrrev_b32_e32 v1, 3, v4
	s_lshl_b64 s[0:1], s[22:23], 2
	v_and_b32_e32 v1, 0x6c, v1
	v_or_b32_e32 v3, 0x380, v0
	s_add_u32 s0, s14, s0
	v_add_u32_e32 v18, v1, v13
	v_lshrrev_b32_e32 v1, 3, v3
	s_addc_u32 s1, s15, s1
	v_and_b32_e32 v1, 0x7c, v1
	v_add_u32_e32 v19, v1, v13
	v_mov_b32_e32 v2, s1
	v_add_co_u32_e32 v1, vcc, s0, v13
	v_addc_co_u32_e32 v2, vcc, 0, v2, vcc
	s_and_b64 vcc, exec, s[24:25]
	s_waitcnt lgkmcnt(0)
	s_cbranch_vccz .LBB18_93
; %bb.92:
	s_barrier
	ds_read_b32 v13, v11
	ds_read_b32 v20, v12 offset:512
	ds_read_b32 v21, v14 offset:1024
	;; [unrolled: 1-line block ×7, first 2 shown]
	s_waitcnt lgkmcnt(7)
	global_store_dword v[1:2], v13, off
	s_waitcnt lgkmcnt(6)
	global_store_dword v[1:2], v20, off offset:512
	s_waitcnt lgkmcnt(5)
	global_store_dword v[1:2], v21, off offset:1024
	;; [unrolled: 2-line block ×6, first 2 shown]
	s_mov_b64 s[0:1], -1
	s_cbranch_execz .LBB18_94
	s_branch .LBB18_103
.LBB18_93:
	s_mov_b64 s[0:1], 0
                                        ; implicit-def: $vgpr7
.LBB18_94:
	s_waitcnt vmcnt(0) lgkmcnt(0)
	s_barrier
	ds_read_b32 v21, v12 offset:512
	ds_read_b32 v20, v14 offset:1024
	;; [unrolled: 1-line block ×7, first 2 shown]
	s_sub_i32 s2, s20, s22
	v_cmp_gt_u32_e32 vcc, s2, v0
	s_and_saveexec_b64 s[0:1], vcc
	s_cbranch_execnz .LBB18_106
; %bb.95:
	s_or_b64 exec, exec, s[0:1]
	v_cmp_gt_u32_e32 vcc, s2, v10
	s_and_saveexec_b64 s[0:1], vcc
	s_cbranch_execnz .LBB18_107
.LBB18_96:
	s_or_b64 exec, exec, s[0:1]
	v_cmp_gt_u32_e32 vcc, s2, v9
	s_and_saveexec_b64 s[0:1], vcc
	s_cbranch_execnz .LBB18_108
.LBB18_97:
	s_or_b64 exec, exec, s[0:1]
	v_cmp_gt_u32_e32 vcc, s2, v8
	s_and_saveexec_b64 s[0:1], vcc
	s_cbranch_execnz .LBB18_109
.LBB18_98:
	s_or_b64 exec, exec, s[0:1]
	v_cmp_gt_u32_e32 vcc, s2, v6
	s_and_saveexec_b64 s[0:1], vcc
	s_cbranch_execnz .LBB18_110
.LBB18_99:
	s_or_b64 exec, exec, s[0:1]
	v_cmp_gt_u32_e32 vcc, s2, v5
	s_and_saveexec_b64 s[0:1], vcc
	s_cbranch_execnz .LBB18_111
.LBB18_100:
	s_or_b64 exec, exec, s[0:1]
	v_cmp_gt_u32_e32 vcc, s2, v4
	s_and_saveexec_b64 s[0:1], vcc
	s_cbranch_execz .LBB18_102
.LBB18_101:
	s_waitcnt lgkmcnt(1)
	global_store_dword v[1:2], v12, off offset:3072
.LBB18_102:
	s_or_b64 exec, exec, s[0:1]
	v_cmp_gt_u32_e64 s[0:1], s2, v3
.LBB18_103:
	s_and_saveexec_b64 s[2:3], s[0:1]
	s_cbranch_execz .LBB18_105
; %bb.104:
	s_waitcnt lgkmcnt(0)
	global_store_dword v[1:2], v7, off offset:3584
.LBB18_105:
	s_endpgm
.LBB18_106:
	ds_read_b32 v0, v11
	s_waitcnt lgkmcnt(0)
	global_store_dword v[1:2], v0, off
	s_or_b64 exec, exec, s[0:1]
	v_cmp_gt_u32_e32 vcc, s2, v10
	s_and_saveexec_b64 s[0:1], vcc
	s_cbranch_execz .LBB18_96
.LBB18_107:
	s_waitcnt lgkmcnt(6)
	global_store_dword v[1:2], v21, off offset:512
	s_or_b64 exec, exec, s[0:1]
	v_cmp_gt_u32_e32 vcc, s2, v9
	s_and_saveexec_b64 s[0:1], vcc
	s_cbranch_execz .LBB18_97
.LBB18_108:
	s_waitcnt lgkmcnt(5)
	global_store_dword v[1:2], v20, off offset:1024
	s_or_b64 exec, exec, s[0:1]
	v_cmp_gt_u32_e32 vcc, s2, v8
	s_and_saveexec_b64 s[0:1], vcc
	s_cbranch_execz .LBB18_98
.LBB18_109:
	s_waitcnt lgkmcnt(4)
	global_store_dword v[1:2], v15, off offset:1536
	s_or_b64 exec, exec, s[0:1]
	v_cmp_gt_u32_e32 vcc, s2, v6
	s_and_saveexec_b64 s[0:1], vcc
	s_cbranch_execz .LBB18_99
.LBB18_110:
	s_waitcnt lgkmcnt(3)
	global_store_dword v[1:2], v14, off offset:2048
	s_or_b64 exec, exec, s[0:1]
	v_cmp_gt_u32_e32 vcc, s2, v5
	s_and_saveexec_b64 s[0:1], vcc
	s_cbranch_execz .LBB18_100
.LBB18_111:
	s_waitcnt lgkmcnt(2)
	global_store_dword v[1:2], v13, off offset:2560
	s_or_b64 exec, exec, s[0:1]
	v_cmp_gt_u32_e32 vcc, s2, v4
	s_and_saveexec_b64 s[0:1], vcc
	s_cbranch_execnz .LBB18_101
	s_branch .LBB18_102
	.section	.rodata,"a",@progbits
	.p2align	6, 0x0
	.amdhsa_kernel _ZN7rocprim17ROCPRIM_304000_NS6detail35device_block_merge_mergepath_kernelINS1_37wrapped_merge_sort_block_merge_configINS0_14default_configEiN2at4cuda3cub6detail10OpaqueTypeILi2EEEEEPiSC_PSA_SD_jNS1_19radix_merge_compareILb0ELb0EiNS0_19identity_decomposerEEEEEvT0_T1_T2_T3_T4_SL_jT5_PKSL_NS1_7vsmem_tE
		.amdhsa_group_segment_fixed_size 4224
		.amdhsa_private_segment_fixed_size 0
		.amdhsa_kernarg_size 320
		.amdhsa_user_sgpr_count 6
		.amdhsa_user_sgpr_private_segment_buffer 1
		.amdhsa_user_sgpr_dispatch_ptr 0
		.amdhsa_user_sgpr_queue_ptr 0
		.amdhsa_user_sgpr_kernarg_segment_ptr 1
		.amdhsa_user_sgpr_dispatch_id 0
		.amdhsa_user_sgpr_flat_scratch_init 0
		.amdhsa_user_sgpr_private_segment_size 0
		.amdhsa_uses_dynamic_stack 0
		.amdhsa_system_sgpr_private_segment_wavefront_offset 0
		.amdhsa_system_sgpr_workgroup_id_x 1
		.amdhsa_system_sgpr_workgroup_id_y 1
		.amdhsa_system_sgpr_workgroup_id_z 1
		.amdhsa_system_sgpr_workgroup_info 0
		.amdhsa_system_vgpr_workitem_id 0
		.amdhsa_next_free_vgpr 33
		.amdhsa_next_free_sgpr 61
		.amdhsa_reserve_vcc 1
		.amdhsa_reserve_flat_scratch 0
		.amdhsa_float_round_mode_32 0
		.amdhsa_float_round_mode_16_64 0
		.amdhsa_float_denorm_mode_32 3
		.amdhsa_float_denorm_mode_16_64 3
		.amdhsa_dx10_clamp 1
		.amdhsa_ieee_mode 1
		.amdhsa_fp16_overflow 0
		.amdhsa_exception_fp_ieee_invalid_op 0
		.amdhsa_exception_fp_denorm_src 0
		.amdhsa_exception_fp_ieee_div_zero 0
		.amdhsa_exception_fp_ieee_overflow 0
		.amdhsa_exception_fp_ieee_underflow 0
		.amdhsa_exception_fp_ieee_inexact 0
		.amdhsa_exception_int_div_zero 0
	.end_amdhsa_kernel
	.section	.text._ZN7rocprim17ROCPRIM_304000_NS6detail35device_block_merge_mergepath_kernelINS1_37wrapped_merge_sort_block_merge_configINS0_14default_configEiN2at4cuda3cub6detail10OpaqueTypeILi2EEEEEPiSC_PSA_SD_jNS1_19radix_merge_compareILb0ELb0EiNS0_19identity_decomposerEEEEEvT0_T1_T2_T3_T4_SL_jT5_PKSL_NS1_7vsmem_tE,"axG",@progbits,_ZN7rocprim17ROCPRIM_304000_NS6detail35device_block_merge_mergepath_kernelINS1_37wrapped_merge_sort_block_merge_configINS0_14default_configEiN2at4cuda3cub6detail10OpaqueTypeILi2EEEEEPiSC_PSA_SD_jNS1_19radix_merge_compareILb0ELb0EiNS0_19identity_decomposerEEEEEvT0_T1_T2_T3_T4_SL_jT5_PKSL_NS1_7vsmem_tE,comdat
.Lfunc_end18:
	.size	_ZN7rocprim17ROCPRIM_304000_NS6detail35device_block_merge_mergepath_kernelINS1_37wrapped_merge_sort_block_merge_configINS0_14default_configEiN2at4cuda3cub6detail10OpaqueTypeILi2EEEEEPiSC_PSA_SD_jNS1_19radix_merge_compareILb0ELb0EiNS0_19identity_decomposerEEEEEvT0_T1_T2_T3_T4_SL_jT5_PKSL_NS1_7vsmem_tE, .Lfunc_end18-_ZN7rocprim17ROCPRIM_304000_NS6detail35device_block_merge_mergepath_kernelINS1_37wrapped_merge_sort_block_merge_configINS0_14default_configEiN2at4cuda3cub6detail10OpaqueTypeILi2EEEEEPiSC_PSA_SD_jNS1_19radix_merge_compareILb0ELb0EiNS0_19identity_decomposerEEEEEvT0_T1_T2_T3_T4_SL_jT5_PKSL_NS1_7vsmem_tE
                                        ; -- End function
	.set _ZN7rocprim17ROCPRIM_304000_NS6detail35device_block_merge_mergepath_kernelINS1_37wrapped_merge_sort_block_merge_configINS0_14default_configEiN2at4cuda3cub6detail10OpaqueTypeILi2EEEEEPiSC_PSA_SD_jNS1_19radix_merge_compareILb0ELb0EiNS0_19identity_decomposerEEEEEvT0_T1_T2_T3_T4_SL_jT5_PKSL_NS1_7vsmem_tE.num_vgpr, 33
	.set _ZN7rocprim17ROCPRIM_304000_NS6detail35device_block_merge_mergepath_kernelINS1_37wrapped_merge_sort_block_merge_configINS0_14default_configEiN2at4cuda3cub6detail10OpaqueTypeILi2EEEEEPiSC_PSA_SD_jNS1_19radix_merge_compareILb0ELb0EiNS0_19identity_decomposerEEEEEvT0_T1_T2_T3_T4_SL_jT5_PKSL_NS1_7vsmem_tE.num_agpr, 0
	.set _ZN7rocprim17ROCPRIM_304000_NS6detail35device_block_merge_mergepath_kernelINS1_37wrapped_merge_sort_block_merge_configINS0_14default_configEiN2at4cuda3cub6detail10OpaqueTypeILi2EEEEEPiSC_PSA_SD_jNS1_19radix_merge_compareILb0ELb0EiNS0_19identity_decomposerEEEEEvT0_T1_T2_T3_T4_SL_jT5_PKSL_NS1_7vsmem_tE.numbered_sgpr, 34
	.set _ZN7rocprim17ROCPRIM_304000_NS6detail35device_block_merge_mergepath_kernelINS1_37wrapped_merge_sort_block_merge_configINS0_14default_configEiN2at4cuda3cub6detail10OpaqueTypeILi2EEEEEPiSC_PSA_SD_jNS1_19radix_merge_compareILb0ELb0EiNS0_19identity_decomposerEEEEEvT0_T1_T2_T3_T4_SL_jT5_PKSL_NS1_7vsmem_tE.num_named_barrier, 0
	.set _ZN7rocprim17ROCPRIM_304000_NS6detail35device_block_merge_mergepath_kernelINS1_37wrapped_merge_sort_block_merge_configINS0_14default_configEiN2at4cuda3cub6detail10OpaqueTypeILi2EEEEEPiSC_PSA_SD_jNS1_19radix_merge_compareILb0ELb0EiNS0_19identity_decomposerEEEEEvT0_T1_T2_T3_T4_SL_jT5_PKSL_NS1_7vsmem_tE.private_seg_size, 0
	.set _ZN7rocprim17ROCPRIM_304000_NS6detail35device_block_merge_mergepath_kernelINS1_37wrapped_merge_sort_block_merge_configINS0_14default_configEiN2at4cuda3cub6detail10OpaqueTypeILi2EEEEEPiSC_PSA_SD_jNS1_19radix_merge_compareILb0ELb0EiNS0_19identity_decomposerEEEEEvT0_T1_T2_T3_T4_SL_jT5_PKSL_NS1_7vsmem_tE.uses_vcc, 1
	.set _ZN7rocprim17ROCPRIM_304000_NS6detail35device_block_merge_mergepath_kernelINS1_37wrapped_merge_sort_block_merge_configINS0_14default_configEiN2at4cuda3cub6detail10OpaqueTypeILi2EEEEEPiSC_PSA_SD_jNS1_19radix_merge_compareILb0ELb0EiNS0_19identity_decomposerEEEEEvT0_T1_T2_T3_T4_SL_jT5_PKSL_NS1_7vsmem_tE.uses_flat_scratch, 0
	.set _ZN7rocprim17ROCPRIM_304000_NS6detail35device_block_merge_mergepath_kernelINS1_37wrapped_merge_sort_block_merge_configINS0_14default_configEiN2at4cuda3cub6detail10OpaqueTypeILi2EEEEEPiSC_PSA_SD_jNS1_19radix_merge_compareILb0ELb0EiNS0_19identity_decomposerEEEEEvT0_T1_T2_T3_T4_SL_jT5_PKSL_NS1_7vsmem_tE.has_dyn_sized_stack, 0
	.set _ZN7rocprim17ROCPRIM_304000_NS6detail35device_block_merge_mergepath_kernelINS1_37wrapped_merge_sort_block_merge_configINS0_14default_configEiN2at4cuda3cub6detail10OpaqueTypeILi2EEEEEPiSC_PSA_SD_jNS1_19radix_merge_compareILb0ELb0EiNS0_19identity_decomposerEEEEEvT0_T1_T2_T3_T4_SL_jT5_PKSL_NS1_7vsmem_tE.has_recursion, 0
	.set _ZN7rocprim17ROCPRIM_304000_NS6detail35device_block_merge_mergepath_kernelINS1_37wrapped_merge_sort_block_merge_configINS0_14default_configEiN2at4cuda3cub6detail10OpaqueTypeILi2EEEEEPiSC_PSA_SD_jNS1_19radix_merge_compareILb0ELb0EiNS0_19identity_decomposerEEEEEvT0_T1_T2_T3_T4_SL_jT5_PKSL_NS1_7vsmem_tE.has_indirect_call, 0
	.section	.AMDGPU.csdata,"",@progbits
; Kernel info:
; codeLenInByte = 5992
; TotalNumSgprs: 38
; NumVgprs: 33
; ScratchSize: 0
; MemoryBound: 0
; FloatMode: 240
; IeeeMode: 1
; LDSByteSize: 4224 bytes/workgroup (compile time only)
; SGPRBlocks: 8
; VGPRBlocks: 8
; NumSGPRsForWavesPerEU: 65
; NumVGPRsForWavesPerEU: 33
; Occupancy: 7
; WaveLimiterHint : 1
; COMPUTE_PGM_RSRC2:SCRATCH_EN: 0
; COMPUTE_PGM_RSRC2:USER_SGPR: 6
; COMPUTE_PGM_RSRC2:TRAP_HANDLER: 0
; COMPUTE_PGM_RSRC2:TGID_X_EN: 1
; COMPUTE_PGM_RSRC2:TGID_Y_EN: 1
; COMPUTE_PGM_RSRC2:TGID_Z_EN: 1
; COMPUTE_PGM_RSRC2:TIDIG_COMP_CNT: 0
	.section	.text._ZN7rocprim17ROCPRIM_304000_NS6detail33device_block_merge_oddeven_kernelINS1_37wrapped_merge_sort_block_merge_configINS0_14default_configEiN2at4cuda3cub6detail10OpaqueTypeILi2EEEEEPiSC_PSA_SD_jNS1_19radix_merge_compareILb0ELb0EiNS0_19identity_decomposerEEEEEvT0_T1_T2_T3_T4_SL_T5_,"axG",@progbits,_ZN7rocprim17ROCPRIM_304000_NS6detail33device_block_merge_oddeven_kernelINS1_37wrapped_merge_sort_block_merge_configINS0_14default_configEiN2at4cuda3cub6detail10OpaqueTypeILi2EEEEEPiSC_PSA_SD_jNS1_19radix_merge_compareILb0ELb0EiNS0_19identity_decomposerEEEEEvT0_T1_T2_T3_T4_SL_T5_,comdat
	.protected	_ZN7rocprim17ROCPRIM_304000_NS6detail33device_block_merge_oddeven_kernelINS1_37wrapped_merge_sort_block_merge_configINS0_14default_configEiN2at4cuda3cub6detail10OpaqueTypeILi2EEEEEPiSC_PSA_SD_jNS1_19radix_merge_compareILb0ELb0EiNS0_19identity_decomposerEEEEEvT0_T1_T2_T3_T4_SL_T5_ ; -- Begin function _ZN7rocprim17ROCPRIM_304000_NS6detail33device_block_merge_oddeven_kernelINS1_37wrapped_merge_sort_block_merge_configINS0_14default_configEiN2at4cuda3cub6detail10OpaqueTypeILi2EEEEEPiSC_PSA_SD_jNS1_19radix_merge_compareILb0ELb0EiNS0_19identity_decomposerEEEEEvT0_T1_T2_T3_T4_SL_T5_
	.globl	_ZN7rocprim17ROCPRIM_304000_NS6detail33device_block_merge_oddeven_kernelINS1_37wrapped_merge_sort_block_merge_configINS0_14default_configEiN2at4cuda3cub6detail10OpaqueTypeILi2EEEEEPiSC_PSA_SD_jNS1_19radix_merge_compareILb0ELb0EiNS0_19identity_decomposerEEEEEvT0_T1_T2_T3_T4_SL_T5_
	.p2align	8
	.type	_ZN7rocprim17ROCPRIM_304000_NS6detail33device_block_merge_oddeven_kernelINS1_37wrapped_merge_sort_block_merge_configINS0_14default_configEiN2at4cuda3cub6detail10OpaqueTypeILi2EEEEEPiSC_PSA_SD_jNS1_19radix_merge_compareILb0ELb0EiNS0_19identity_decomposerEEEEEvT0_T1_T2_T3_T4_SL_T5_,@function
_ZN7rocprim17ROCPRIM_304000_NS6detail33device_block_merge_oddeven_kernelINS1_37wrapped_merge_sort_block_merge_configINS0_14default_configEiN2at4cuda3cub6detail10OpaqueTypeILi2EEEEEPiSC_PSA_SD_jNS1_19radix_merge_compareILb0ELb0EiNS0_19identity_decomposerEEEEEvT0_T1_T2_T3_T4_SL_T5_: ; @_ZN7rocprim17ROCPRIM_304000_NS6detail33device_block_merge_oddeven_kernelINS1_37wrapped_merge_sort_block_merge_configINS0_14default_configEiN2at4cuda3cub6detail10OpaqueTypeILi2EEEEEPiSC_PSA_SD_jNS1_19radix_merge_compareILb0ELb0EiNS0_19identity_decomposerEEEEEvT0_T1_T2_T3_T4_SL_T5_
; %bb.0:
	s_load_dwordx2 s[18:19], s[4:5], 0x20
	s_waitcnt lgkmcnt(0)
	s_lshr_b32 s0, s18, 8
	s_cmp_eq_u32 s6, s0
	s_cselect_b64 s[16:17], -1, 0
	s_cmp_lg_u32 s6, s0
	s_cselect_b64 s[0:1], -1, 0
	s_lshl_b32 s20, s6, 8
	s_sub_i32 s2, s18, s20
	v_cmp_gt_u32_e64 s[2:3], s2, v0
	s_or_b64 s[0:1], s[0:1], s[2:3]
	s_and_saveexec_b64 s[8:9], s[0:1]
	s_cbranch_execz .LBB19_24
; %bb.1:
	s_load_dwordx8 s[8:15], s[4:5], 0x0
	s_mov_b32 s21, 0
	s_lshl_b64 s[0:1], s[20:21], 2
	v_lshlrev_b32_e32 v4, 1, v0
	v_lshlrev_b32_e32 v1, 2, v0
	s_waitcnt lgkmcnt(0)
	s_add_u32 s0, s8, s0
	s_addc_u32 s1, s9, s1
	s_lshl_b64 s[4:5], s[20:21], 1
	s_add_u32 s4, s12, s4
	s_addc_u32 s5, s13, s5
	global_load_ushort v2, v4, s[4:5]
	global_load_dword v3, v1, s[0:1]
	s_lshr_b32 s0, s19, 8
	s_sub_i32 s1, 0, s0
	s_and_b32 s1, s6, s1
	s_and_b32 s0, s1, s0
	s_lshl_b32 s13, s1, 8
	s_sub_i32 s6, 0, s19
	s_cmp_eq_u32 s0, 0
	s_cselect_b64 s[0:1], -1, 0
	s_and_b64 s[4:5], s[0:1], exec
	s_cselect_b32 s6, s19, s6
	s_add_i32 s6, s6, s13
	s_mov_b64 s[4:5], -1
	s_cmp_gt_u32 s18, s6
	v_add_u32_e32 v0, s20, v0
	s_cbranch_scc1 .LBB19_9
; %bb.2:
	s_and_b64 vcc, exec, s[16:17]
	s_cbranch_vccz .LBB19_6
; %bb.3:
	v_cmp_gt_u32_e32 vcc, s18, v0
	s_and_saveexec_b64 s[4:5], vcc
	s_cbranch_execz .LBB19_5
; %bb.4:
	v_mov_b32_e32 v1, 0
	v_lshlrev_b64 v[4:5], 1, v[0:1]
	v_mov_b32_e32 v6, s15
	v_add_co_u32_e32 v4, vcc, s14, v4
	v_addc_co_u32_e32 v5, vcc, v6, v5, vcc
	v_lshlrev_b64 v[6:7], 2, v[0:1]
	v_mov_b32_e32 v1, s11
	v_add_co_u32_e32 v6, vcc, s10, v6
	v_addc_co_u32_e32 v7, vcc, v1, v7, vcc
	s_waitcnt vmcnt(0)
	global_store_dword v[6:7], v3, off
	global_store_short v[4:5], v2, off
.LBB19_5:
	s_or_b64 exec, exec, s[4:5]
	s_mov_b64 s[4:5], 0
.LBB19_6:
	s_andn2_b64 vcc, exec, s[4:5]
	s_cbranch_vccnz .LBB19_8
; %bb.7:
	v_mov_b32_e32 v1, 0
	v_lshlrev_b64 v[4:5], 2, v[0:1]
	v_mov_b32_e32 v6, s11
	v_add_co_u32_e32 v4, vcc, s10, v4
	v_addc_co_u32_e32 v5, vcc, v6, v5, vcc
	v_lshlrev_b64 v[6:7], 1, v[0:1]
	v_mov_b32_e32 v1, s15
	v_add_co_u32_e32 v6, vcc, s14, v6
	v_addc_co_u32_e32 v7, vcc, v1, v7, vcc
	s_waitcnt vmcnt(0)
	global_store_dword v[4:5], v3, off
	global_store_short v[6:7], v2, off
.LBB19_8:
	s_mov_b64 s[4:5], 0
.LBB19_9:
	s_andn2_b64 vcc, exec, s[4:5]
	s_cbranch_vccnz .LBB19_24
; %bb.10:
	s_min_u32 s7, s6, s18
	s_add_i32 s4, s7, s19
	s_min_u32 s12, s4, s18
	s_min_u32 s4, s13, s7
	s_add_i32 s13, s13, s7
	v_subrev_u32_e32 v0, s13, v0
	v_add_u32_e32 v4, s4, v0
	s_andn2_b64 vcc, exec, s[16:17]
	s_mov_b64 s[4:5], -1
	s_cbranch_vccnz .LBB19_18
; %bb.11:
	s_and_saveexec_b64 s[4:5], s[2:3]
	s_cbranch_execz .LBB19_17
; %bb.12:
	s_cmp_ge_u32 s6, s12
	v_mov_b32_e32 v5, s7
	s_cbranch_scc1 .LBB19_16
; %bb.13:
	s_mov_b64 s[2:3], 0
	v_mov_b32_e32 v6, s12
	v_mov_b32_e32 v5, s7
	;; [unrolled: 1-line block ×4, first 2 shown]
.LBB19_14:                              ; =>This Inner Loop Header: Depth=1
	v_add_u32_e32 v0, v5, v6
	v_lshrrev_b32_e32 v0, 1, v0
	v_lshlrev_b64 v[8:9], 2, v[0:1]
	v_add_co_u32_e32 v8, vcc, s8, v8
	v_addc_co_u32_e32 v9, vcc, v7, v9, vcc
	global_load_dword v8, v[8:9], off
	v_add_u32_e32 v9, 1, v0
	s_waitcnt vmcnt(0)
	v_cmp_gt_i32_e32 vcc, v3, v8
	v_cndmask_b32_e64 v10, 0, 1, vcc
	v_cmp_le_i32_e32 vcc, v8, v3
	v_cndmask_b32_e64 v8, 0, 1, vcc
	v_cndmask_b32_e64 v8, v8, v10, s[0:1]
	v_and_b32_e32 v8, 1, v8
	v_cmp_eq_u32_e32 vcc, 1, v8
	v_cndmask_b32_e32 v6, v0, v6, vcc
	v_cndmask_b32_e32 v5, v5, v9, vcc
	v_cmp_ge_u32_e32 vcc, v5, v6
	s_or_b64 s[2:3], vcc, s[2:3]
	s_andn2_b64 exec, exec, s[2:3]
	s_cbranch_execnz .LBB19_14
; %bb.15:
	s_or_b64 exec, exec, s[2:3]
.LBB19_16:
	v_add_u32_e32 v0, v5, v4
	v_mov_b32_e32 v1, 0
	v_lshlrev_b64 v[5:6], 2, v[0:1]
	v_mov_b32_e32 v7, s11
	v_add_co_u32_e32 v5, vcc, s10, v5
	v_lshlrev_b64 v[0:1], 1, v[0:1]
	v_addc_co_u32_e32 v6, vcc, v7, v6, vcc
	s_waitcnt vmcnt(0)
	global_store_dword v[5:6], v3, off
	v_mov_b32_e32 v5, s15
	v_add_co_u32_e32 v0, vcc, s14, v0
	v_addc_co_u32_e32 v1, vcc, v5, v1, vcc
	global_store_short v[0:1], v2, off
.LBB19_17:
	s_or_b64 exec, exec, s[4:5]
	s_mov_b64 s[4:5], 0
.LBB19_18:
	s_andn2_b64 vcc, exec, s[4:5]
	s_cbranch_vccnz .LBB19_24
; %bb.19:
	s_cmp_ge_u32 s6, s12
	v_mov_b32_e32 v5, s7
	s_cbranch_scc1 .LBB19_23
; %bb.20:
	s_mov_b64 s[2:3], 0
	v_mov_b32_e32 v6, s12
	v_mov_b32_e32 v5, s7
	;; [unrolled: 1-line block ×4, first 2 shown]
.LBB19_21:                              ; =>This Inner Loop Header: Depth=1
	v_add_u32_e32 v0, v5, v6
	v_lshrrev_b32_e32 v0, 1, v0
	v_lshlrev_b64 v[8:9], 2, v[0:1]
	v_add_co_u32_e32 v8, vcc, s8, v8
	v_addc_co_u32_e32 v9, vcc, v7, v9, vcc
	global_load_dword v8, v[8:9], off
	v_add_u32_e32 v9, 1, v0
	s_waitcnt vmcnt(0)
	v_cmp_gt_i32_e32 vcc, v3, v8
	v_cndmask_b32_e64 v10, 0, 1, vcc
	v_cmp_le_i32_e32 vcc, v8, v3
	v_cndmask_b32_e64 v8, 0, 1, vcc
	v_cndmask_b32_e64 v8, v8, v10, s[0:1]
	v_and_b32_e32 v8, 1, v8
	v_cmp_eq_u32_e32 vcc, 1, v8
	v_cndmask_b32_e32 v6, v0, v6, vcc
	v_cndmask_b32_e32 v5, v5, v9, vcc
	v_cmp_ge_u32_e32 vcc, v5, v6
	s_or_b64 s[2:3], vcc, s[2:3]
	s_andn2_b64 exec, exec, s[2:3]
	s_cbranch_execnz .LBB19_21
; %bb.22:
	s_or_b64 exec, exec, s[2:3]
.LBB19_23:
	v_add_u32_e32 v0, v5, v4
	v_mov_b32_e32 v1, 0
	v_lshlrev_b64 v[4:5], 2, v[0:1]
	v_mov_b32_e32 v6, s11
	v_add_co_u32_e32 v4, vcc, s10, v4
	v_lshlrev_b64 v[0:1], 1, v[0:1]
	v_addc_co_u32_e32 v5, vcc, v6, v5, vcc
	s_waitcnt vmcnt(0)
	global_store_dword v[4:5], v3, off
	v_mov_b32_e32 v3, s15
	v_add_co_u32_e32 v0, vcc, s14, v0
	v_addc_co_u32_e32 v1, vcc, v3, v1, vcc
	global_store_short v[0:1], v2, off
.LBB19_24:
	s_endpgm
	.section	.rodata,"a",@progbits
	.p2align	6, 0x0
	.amdhsa_kernel _ZN7rocprim17ROCPRIM_304000_NS6detail33device_block_merge_oddeven_kernelINS1_37wrapped_merge_sort_block_merge_configINS0_14default_configEiN2at4cuda3cub6detail10OpaqueTypeILi2EEEEEPiSC_PSA_SD_jNS1_19radix_merge_compareILb0ELb0EiNS0_19identity_decomposerEEEEEvT0_T1_T2_T3_T4_SL_T5_
		.amdhsa_group_segment_fixed_size 0
		.amdhsa_private_segment_fixed_size 0
		.amdhsa_kernarg_size 44
		.amdhsa_user_sgpr_count 6
		.amdhsa_user_sgpr_private_segment_buffer 1
		.amdhsa_user_sgpr_dispatch_ptr 0
		.amdhsa_user_sgpr_queue_ptr 0
		.amdhsa_user_sgpr_kernarg_segment_ptr 1
		.amdhsa_user_sgpr_dispatch_id 0
		.amdhsa_user_sgpr_flat_scratch_init 0
		.amdhsa_user_sgpr_private_segment_size 0
		.amdhsa_uses_dynamic_stack 0
		.amdhsa_system_sgpr_private_segment_wavefront_offset 0
		.amdhsa_system_sgpr_workgroup_id_x 1
		.amdhsa_system_sgpr_workgroup_id_y 0
		.amdhsa_system_sgpr_workgroup_id_z 0
		.amdhsa_system_sgpr_workgroup_info 0
		.amdhsa_system_vgpr_workitem_id 0
		.amdhsa_next_free_vgpr 11
		.amdhsa_next_free_sgpr 22
		.amdhsa_reserve_vcc 1
		.amdhsa_reserve_flat_scratch 0
		.amdhsa_float_round_mode_32 0
		.amdhsa_float_round_mode_16_64 0
		.amdhsa_float_denorm_mode_32 3
		.amdhsa_float_denorm_mode_16_64 3
		.amdhsa_dx10_clamp 1
		.amdhsa_ieee_mode 1
		.amdhsa_fp16_overflow 0
		.amdhsa_exception_fp_ieee_invalid_op 0
		.amdhsa_exception_fp_denorm_src 0
		.amdhsa_exception_fp_ieee_div_zero 0
		.amdhsa_exception_fp_ieee_overflow 0
		.amdhsa_exception_fp_ieee_underflow 0
		.amdhsa_exception_fp_ieee_inexact 0
		.amdhsa_exception_int_div_zero 0
	.end_amdhsa_kernel
	.section	.text._ZN7rocprim17ROCPRIM_304000_NS6detail33device_block_merge_oddeven_kernelINS1_37wrapped_merge_sort_block_merge_configINS0_14default_configEiN2at4cuda3cub6detail10OpaqueTypeILi2EEEEEPiSC_PSA_SD_jNS1_19radix_merge_compareILb0ELb0EiNS0_19identity_decomposerEEEEEvT0_T1_T2_T3_T4_SL_T5_,"axG",@progbits,_ZN7rocprim17ROCPRIM_304000_NS6detail33device_block_merge_oddeven_kernelINS1_37wrapped_merge_sort_block_merge_configINS0_14default_configEiN2at4cuda3cub6detail10OpaqueTypeILi2EEEEEPiSC_PSA_SD_jNS1_19radix_merge_compareILb0ELb0EiNS0_19identity_decomposerEEEEEvT0_T1_T2_T3_T4_SL_T5_,comdat
.Lfunc_end19:
	.size	_ZN7rocprim17ROCPRIM_304000_NS6detail33device_block_merge_oddeven_kernelINS1_37wrapped_merge_sort_block_merge_configINS0_14default_configEiN2at4cuda3cub6detail10OpaqueTypeILi2EEEEEPiSC_PSA_SD_jNS1_19radix_merge_compareILb0ELb0EiNS0_19identity_decomposerEEEEEvT0_T1_T2_T3_T4_SL_T5_, .Lfunc_end19-_ZN7rocprim17ROCPRIM_304000_NS6detail33device_block_merge_oddeven_kernelINS1_37wrapped_merge_sort_block_merge_configINS0_14default_configEiN2at4cuda3cub6detail10OpaqueTypeILi2EEEEEPiSC_PSA_SD_jNS1_19radix_merge_compareILb0ELb0EiNS0_19identity_decomposerEEEEEvT0_T1_T2_T3_T4_SL_T5_
                                        ; -- End function
	.set _ZN7rocprim17ROCPRIM_304000_NS6detail33device_block_merge_oddeven_kernelINS1_37wrapped_merge_sort_block_merge_configINS0_14default_configEiN2at4cuda3cub6detail10OpaqueTypeILi2EEEEEPiSC_PSA_SD_jNS1_19radix_merge_compareILb0ELb0EiNS0_19identity_decomposerEEEEEvT0_T1_T2_T3_T4_SL_T5_.num_vgpr, 11
	.set _ZN7rocprim17ROCPRIM_304000_NS6detail33device_block_merge_oddeven_kernelINS1_37wrapped_merge_sort_block_merge_configINS0_14default_configEiN2at4cuda3cub6detail10OpaqueTypeILi2EEEEEPiSC_PSA_SD_jNS1_19radix_merge_compareILb0ELb0EiNS0_19identity_decomposerEEEEEvT0_T1_T2_T3_T4_SL_T5_.num_agpr, 0
	.set _ZN7rocprim17ROCPRIM_304000_NS6detail33device_block_merge_oddeven_kernelINS1_37wrapped_merge_sort_block_merge_configINS0_14default_configEiN2at4cuda3cub6detail10OpaqueTypeILi2EEEEEPiSC_PSA_SD_jNS1_19radix_merge_compareILb0ELb0EiNS0_19identity_decomposerEEEEEvT0_T1_T2_T3_T4_SL_T5_.numbered_sgpr, 22
	.set _ZN7rocprim17ROCPRIM_304000_NS6detail33device_block_merge_oddeven_kernelINS1_37wrapped_merge_sort_block_merge_configINS0_14default_configEiN2at4cuda3cub6detail10OpaqueTypeILi2EEEEEPiSC_PSA_SD_jNS1_19radix_merge_compareILb0ELb0EiNS0_19identity_decomposerEEEEEvT0_T1_T2_T3_T4_SL_T5_.num_named_barrier, 0
	.set _ZN7rocprim17ROCPRIM_304000_NS6detail33device_block_merge_oddeven_kernelINS1_37wrapped_merge_sort_block_merge_configINS0_14default_configEiN2at4cuda3cub6detail10OpaqueTypeILi2EEEEEPiSC_PSA_SD_jNS1_19radix_merge_compareILb0ELb0EiNS0_19identity_decomposerEEEEEvT0_T1_T2_T3_T4_SL_T5_.private_seg_size, 0
	.set _ZN7rocprim17ROCPRIM_304000_NS6detail33device_block_merge_oddeven_kernelINS1_37wrapped_merge_sort_block_merge_configINS0_14default_configEiN2at4cuda3cub6detail10OpaqueTypeILi2EEEEEPiSC_PSA_SD_jNS1_19radix_merge_compareILb0ELb0EiNS0_19identity_decomposerEEEEEvT0_T1_T2_T3_T4_SL_T5_.uses_vcc, 1
	.set _ZN7rocprim17ROCPRIM_304000_NS6detail33device_block_merge_oddeven_kernelINS1_37wrapped_merge_sort_block_merge_configINS0_14default_configEiN2at4cuda3cub6detail10OpaqueTypeILi2EEEEEPiSC_PSA_SD_jNS1_19radix_merge_compareILb0ELb0EiNS0_19identity_decomposerEEEEEvT0_T1_T2_T3_T4_SL_T5_.uses_flat_scratch, 0
	.set _ZN7rocprim17ROCPRIM_304000_NS6detail33device_block_merge_oddeven_kernelINS1_37wrapped_merge_sort_block_merge_configINS0_14default_configEiN2at4cuda3cub6detail10OpaqueTypeILi2EEEEEPiSC_PSA_SD_jNS1_19radix_merge_compareILb0ELb0EiNS0_19identity_decomposerEEEEEvT0_T1_T2_T3_T4_SL_T5_.has_dyn_sized_stack, 0
	.set _ZN7rocprim17ROCPRIM_304000_NS6detail33device_block_merge_oddeven_kernelINS1_37wrapped_merge_sort_block_merge_configINS0_14default_configEiN2at4cuda3cub6detail10OpaqueTypeILi2EEEEEPiSC_PSA_SD_jNS1_19radix_merge_compareILb0ELb0EiNS0_19identity_decomposerEEEEEvT0_T1_T2_T3_T4_SL_T5_.has_recursion, 0
	.set _ZN7rocprim17ROCPRIM_304000_NS6detail33device_block_merge_oddeven_kernelINS1_37wrapped_merge_sort_block_merge_configINS0_14default_configEiN2at4cuda3cub6detail10OpaqueTypeILi2EEEEEPiSC_PSA_SD_jNS1_19radix_merge_compareILb0ELb0EiNS0_19identity_decomposerEEEEEvT0_T1_T2_T3_T4_SL_T5_.has_indirect_call, 0
	.section	.AMDGPU.csdata,"",@progbits
; Kernel info:
; codeLenInByte = 844
; TotalNumSgprs: 26
; NumVgprs: 11
; ScratchSize: 0
; MemoryBound: 0
; FloatMode: 240
; IeeeMode: 1
; LDSByteSize: 0 bytes/workgroup (compile time only)
; SGPRBlocks: 3
; VGPRBlocks: 2
; NumSGPRsForWavesPerEU: 26
; NumVGPRsForWavesPerEU: 11
; Occupancy: 10
; WaveLimiterHint : 0
; COMPUTE_PGM_RSRC2:SCRATCH_EN: 0
; COMPUTE_PGM_RSRC2:USER_SGPR: 6
; COMPUTE_PGM_RSRC2:TRAP_HANDLER: 0
; COMPUTE_PGM_RSRC2:TGID_X_EN: 1
; COMPUTE_PGM_RSRC2:TGID_Y_EN: 0
; COMPUTE_PGM_RSRC2:TGID_Z_EN: 0
; COMPUTE_PGM_RSRC2:TIDIG_COMP_CNT: 0
	.section	.text._ZN7rocprim17ROCPRIM_304000_NS6detail45device_block_merge_mergepath_partition_kernelINS1_37wrapped_merge_sort_block_merge_configINS0_14default_configEiN2at4cuda3cub6detail10OpaqueTypeILi2EEEEEPijNS1_19radix_merge_compareILb0ELb1EiNS0_19identity_decomposerEEEEEvT0_T1_jPSH_T2_SH_,"axG",@progbits,_ZN7rocprim17ROCPRIM_304000_NS6detail45device_block_merge_mergepath_partition_kernelINS1_37wrapped_merge_sort_block_merge_configINS0_14default_configEiN2at4cuda3cub6detail10OpaqueTypeILi2EEEEEPijNS1_19radix_merge_compareILb0ELb1EiNS0_19identity_decomposerEEEEEvT0_T1_jPSH_T2_SH_,comdat
	.protected	_ZN7rocprim17ROCPRIM_304000_NS6detail45device_block_merge_mergepath_partition_kernelINS1_37wrapped_merge_sort_block_merge_configINS0_14default_configEiN2at4cuda3cub6detail10OpaqueTypeILi2EEEEEPijNS1_19radix_merge_compareILb0ELb1EiNS0_19identity_decomposerEEEEEvT0_T1_jPSH_T2_SH_ ; -- Begin function _ZN7rocprim17ROCPRIM_304000_NS6detail45device_block_merge_mergepath_partition_kernelINS1_37wrapped_merge_sort_block_merge_configINS0_14default_configEiN2at4cuda3cub6detail10OpaqueTypeILi2EEEEEPijNS1_19radix_merge_compareILb0ELb1EiNS0_19identity_decomposerEEEEEvT0_T1_jPSH_T2_SH_
	.globl	_ZN7rocprim17ROCPRIM_304000_NS6detail45device_block_merge_mergepath_partition_kernelINS1_37wrapped_merge_sort_block_merge_configINS0_14default_configEiN2at4cuda3cub6detail10OpaqueTypeILi2EEEEEPijNS1_19radix_merge_compareILb0ELb1EiNS0_19identity_decomposerEEEEEvT0_T1_jPSH_T2_SH_
	.p2align	8
	.type	_ZN7rocprim17ROCPRIM_304000_NS6detail45device_block_merge_mergepath_partition_kernelINS1_37wrapped_merge_sort_block_merge_configINS0_14default_configEiN2at4cuda3cub6detail10OpaqueTypeILi2EEEEEPijNS1_19radix_merge_compareILb0ELb1EiNS0_19identity_decomposerEEEEEvT0_T1_jPSH_T2_SH_,@function
_ZN7rocprim17ROCPRIM_304000_NS6detail45device_block_merge_mergepath_partition_kernelINS1_37wrapped_merge_sort_block_merge_configINS0_14default_configEiN2at4cuda3cub6detail10OpaqueTypeILi2EEEEEPijNS1_19radix_merge_compareILb0ELb1EiNS0_19identity_decomposerEEEEEvT0_T1_jPSH_T2_SH_: ; @_ZN7rocprim17ROCPRIM_304000_NS6detail45device_block_merge_mergepath_partition_kernelINS1_37wrapped_merge_sort_block_merge_configINS0_14default_configEiN2at4cuda3cub6detail10OpaqueTypeILi2EEEEEPijNS1_19radix_merge_compareILb0ELb1EiNS0_19identity_decomposerEEEEEvT0_T1_jPSH_T2_SH_
; %bb.0:
	s_load_dwordx2 s[2:3], s[4:5], 0x8
	v_lshl_or_b32 v0, s6, 7, v0
	s_waitcnt lgkmcnt(0)
	v_cmp_gt_u32_e32 vcc, s3, v0
	s_and_saveexec_b64 s[0:1], vcc
	s_cbranch_execz .LBB20_6
; %bb.1:
	s_load_dwordx2 s[0:1], s[4:5], 0x18
	s_waitcnt lgkmcnt(0)
	s_lshr_b32 s3, s1, 9
	s_and_b32 s3, s3, 0x7ffffe
	s_add_i32 s6, s3, -1
	s_sub_i32 s3, 0, s3
	v_and_b32_e32 v1, s3, v0
	v_lshlrev_b32_e32 v3, 10, v1
	v_min_u32_e32 v1, s2, v3
	v_add_u32_e32 v3, s1, v3
	v_min_u32_e32 v3, s2, v3
	v_add_u32_e32 v4, s1, v3
	v_and_b32_e32 v2, s6, v0
	v_min_u32_e32 v4, s2, v4
	v_lshlrev_b32_e32 v2, 10, v2
	v_sub_u32_e32 v5, v4, v1
	v_min_u32_e32 v6, v5, v2
	v_sub_u32_e32 v2, v3, v1
	v_sub_u32_e32 v4, v4, v3
	v_sub_u32_e64 v5, v6, v4 clamp
	v_min_u32_e32 v7, v6, v2
	v_cmp_lt_u32_e32 vcc, v5, v7
	s_and_saveexec_b64 s[2:3], vcc
	s_cbranch_execz .LBB20_5
; %bb.2:
	s_load_dwordx2 s[6:7], s[4:5], 0x0
	v_mov_b32_e32 v4, 0
	v_mov_b32_e32 v2, v4
	v_lshlrev_b64 v[8:9], 2, v[1:2]
	s_waitcnt lgkmcnt(0)
	v_mov_b32_e32 v11, s7
	v_add_co_u32_e32 v2, vcc, s6, v8
	v_addc_co_u32_e32 v8, vcc, v11, v9, vcc
	v_lshlrev_b64 v[9:10], 2, v[3:4]
	v_add_co_u32_e32 v9, vcc, s6, v9
	v_addc_co_u32_e32 v10, vcc, v11, v10, vcc
	s_mov_b64 s[6:7], 0
.LBB20_3:                               ; =>This Inner Loop Header: Depth=1
	v_add_u32_e32 v3, v7, v5
	v_lshrrev_b32_e32 v3, 1, v3
	v_lshlrev_b64 v[13:14], 2, v[3:4]
	v_mov_b32_e32 v12, v4
	v_xad_u32 v11, v3, -1, v6
	v_lshlrev_b64 v[11:12], 2, v[11:12]
	v_add_co_u32_e32 v13, vcc, v2, v13
	v_addc_co_u32_e32 v14, vcc, v8, v14, vcc
	v_add_co_u32_e32 v11, vcc, v9, v11
	v_addc_co_u32_e32 v12, vcc, v10, v12, vcc
	global_load_dword v15, v[13:14], off
	global_load_dword v16, v[11:12], off
	v_add_u32_e32 v11, 1, v3
	s_waitcnt vmcnt(1)
	v_and_b32_e32 v12, s0, v15
	s_waitcnt vmcnt(0)
	v_and_b32_e32 v13, s0, v16
	v_cmp_gt_i32_e32 vcc, v12, v13
	v_cndmask_b32_e32 v7, v7, v3, vcc
	v_cndmask_b32_e32 v5, v11, v5, vcc
	v_cmp_ge_u32_e32 vcc, v5, v7
	s_or_b64 s[6:7], vcc, s[6:7]
	s_andn2_b64 exec, exec, s[6:7]
	s_cbranch_execnz .LBB20_3
; %bb.4:
	s_or_b64 exec, exec, s[6:7]
.LBB20_5:
	s_or_b64 exec, exec, s[2:3]
	s_load_dwordx2 s[0:1], s[4:5], 0x10
	v_add_u32_e32 v2, v5, v1
	v_mov_b32_e32 v1, 0
	v_lshlrev_b64 v[0:1], 2, v[0:1]
	s_waitcnt lgkmcnt(0)
	v_mov_b32_e32 v3, s1
	v_add_co_u32_e32 v0, vcc, s0, v0
	v_addc_co_u32_e32 v1, vcc, v3, v1, vcc
	global_store_dword v[0:1], v2, off
.LBB20_6:
	s_endpgm
	.section	.rodata,"a",@progbits
	.p2align	6, 0x0
	.amdhsa_kernel _ZN7rocprim17ROCPRIM_304000_NS6detail45device_block_merge_mergepath_partition_kernelINS1_37wrapped_merge_sort_block_merge_configINS0_14default_configEiN2at4cuda3cub6detail10OpaqueTypeILi2EEEEEPijNS1_19radix_merge_compareILb0ELb1EiNS0_19identity_decomposerEEEEEvT0_T1_jPSH_T2_SH_
		.amdhsa_group_segment_fixed_size 0
		.amdhsa_private_segment_fixed_size 0
		.amdhsa_kernarg_size 32
		.amdhsa_user_sgpr_count 6
		.amdhsa_user_sgpr_private_segment_buffer 1
		.amdhsa_user_sgpr_dispatch_ptr 0
		.amdhsa_user_sgpr_queue_ptr 0
		.amdhsa_user_sgpr_kernarg_segment_ptr 1
		.amdhsa_user_sgpr_dispatch_id 0
		.amdhsa_user_sgpr_flat_scratch_init 0
		.amdhsa_user_sgpr_private_segment_size 0
		.amdhsa_uses_dynamic_stack 0
		.amdhsa_system_sgpr_private_segment_wavefront_offset 0
		.amdhsa_system_sgpr_workgroup_id_x 1
		.amdhsa_system_sgpr_workgroup_id_y 0
		.amdhsa_system_sgpr_workgroup_id_z 0
		.amdhsa_system_sgpr_workgroup_info 0
		.amdhsa_system_vgpr_workitem_id 0
		.amdhsa_next_free_vgpr 17
		.amdhsa_next_free_sgpr 8
		.amdhsa_reserve_vcc 1
		.amdhsa_reserve_flat_scratch 0
		.amdhsa_float_round_mode_32 0
		.amdhsa_float_round_mode_16_64 0
		.amdhsa_float_denorm_mode_32 3
		.amdhsa_float_denorm_mode_16_64 3
		.amdhsa_dx10_clamp 1
		.amdhsa_ieee_mode 1
		.amdhsa_fp16_overflow 0
		.amdhsa_exception_fp_ieee_invalid_op 0
		.amdhsa_exception_fp_denorm_src 0
		.amdhsa_exception_fp_ieee_div_zero 0
		.amdhsa_exception_fp_ieee_overflow 0
		.amdhsa_exception_fp_ieee_underflow 0
		.amdhsa_exception_fp_ieee_inexact 0
		.amdhsa_exception_int_div_zero 0
	.end_amdhsa_kernel
	.section	.text._ZN7rocprim17ROCPRIM_304000_NS6detail45device_block_merge_mergepath_partition_kernelINS1_37wrapped_merge_sort_block_merge_configINS0_14default_configEiN2at4cuda3cub6detail10OpaqueTypeILi2EEEEEPijNS1_19radix_merge_compareILb0ELb1EiNS0_19identity_decomposerEEEEEvT0_T1_jPSH_T2_SH_,"axG",@progbits,_ZN7rocprim17ROCPRIM_304000_NS6detail45device_block_merge_mergepath_partition_kernelINS1_37wrapped_merge_sort_block_merge_configINS0_14default_configEiN2at4cuda3cub6detail10OpaqueTypeILi2EEEEEPijNS1_19radix_merge_compareILb0ELb1EiNS0_19identity_decomposerEEEEEvT0_T1_jPSH_T2_SH_,comdat
.Lfunc_end20:
	.size	_ZN7rocprim17ROCPRIM_304000_NS6detail45device_block_merge_mergepath_partition_kernelINS1_37wrapped_merge_sort_block_merge_configINS0_14default_configEiN2at4cuda3cub6detail10OpaqueTypeILi2EEEEEPijNS1_19radix_merge_compareILb0ELb1EiNS0_19identity_decomposerEEEEEvT0_T1_jPSH_T2_SH_, .Lfunc_end20-_ZN7rocprim17ROCPRIM_304000_NS6detail45device_block_merge_mergepath_partition_kernelINS1_37wrapped_merge_sort_block_merge_configINS0_14default_configEiN2at4cuda3cub6detail10OpaqueTypeILi2EEEEEPijNS1_19radix_merge_compareILb0ELb1EiNS0_19identity_decomposerEEEEEvT0_T1_jPSH_T2_SH_
                                        ; -- End function
	.set _ZN7rocprim17ROCPRIM_304000_NS6detail45device_block_merge_mergepath_partition_kernelINS1_37wrapped_merge_sort_block_merge_configINS0_14default_configEiN2at4cuda3cub6detail10OpaqueTypeILi2EEEEEPijNS1_19radix_merge_compareILb0ELb1EiNS0_19identity_decomposerEEEEEvT0_T1_jPSH_T2_SH_.num_vgpr, 17
	.set _ZN7rocprim17ROCPRIM_304000_NS6detail45device_block_merge_mergepath_partition_kernelINS1_37wrapped_merge_sort_block_merge_configINS0_14default_configEiN2at4cuda3cub6detail10OpaqueTypeILi2EEEEEPijNS1_19radix_merge_compareILb0ELb1EiNS0_19identity_decomposerEEEEEvT0_T1_jPSH_T2_SH_.num_agpr, 0
	.set _ZN7rocprim17ROCPRIM_304000_NS6detail45device_block_merge_mergepath_partition_kernelINS1_37wrapped_merge_sort_block_merge_configINS0_14default_configEiN2at4cuda3cub6detail10OpaqueTypeILi2EEEEEPijNS1_19radix_merge_compareILb0ELb1EiNS0_19identity_decomposerEEEEEvT0_T1_jPSH_T2_SH_.numbered_sgpr, 8
	.set _ZN7rocprim17ROCPRIM_304000_NS6detail45device_block_merge_mergepath_partition_kernelINS1_37wrapped_merge_sort_block_merge_configINS0_14default_configEiN2at4cuda3cub6detail10OpaqueTypeILi2EEEEEPijNS1_19radix_merge_compareILb0ELb1EiNS0_19identity_decomposerEEEEEvT0_T1_jPSH_T2_SH_.num_named_barrier, 0
	.set _ZN7rocprim17ROCPRIM_304000_NS6detail45device_block_merge_mergepath_partition_kernelINS1_37wrapped_merge_sort_block_merge_configINS0_14default_configEiN2at4cuda3cub6detail10OpaqueTypeILi2EEEEEPijNS1_19radix_merge_compareILb0ELb1EiNS0_19identity_decomposerEEEEEvT0_T1_jPSH_T2_SH_.private_seg_size, 0
	.set _ZN7rocprim17ROCPRIM_304000_NS6detail45device_block_merge_mergepath_partition_kernelINS1_37wrapped_merge_sort_block_merge_configINS0_14default_configEiN2at4cuda3cub6detail10OpaqueTypeILi2EEEEEPijNS1_19radix_merge_compareILb0ELb1EiNS0_19identity_decomposerEEEEEvT0_T1_jPSH_T2_SH_.uses_vcc, 1
	.set _ZN7rocprim17ROCPRIM_304000_NS6detail45device_block_merge_mergepath_partition_kernelINS1_37wrapped_merge_sort_block_merge_configINS0_14default_configEiN2at4cuda3cub6detail10OpaqueTypeILi2EEEEEPijNS1_19radix_merge_compareILb0ELb1EiNS0_19identity_decomposerEEEEEvT0_T1_jPSH_T2_SH_.uses_flat_scratch, 0
	.set _ZN7rocprim17ROCPRIM_304000_NS6detail45device_block_merge_mergepath_partition_kernelINS1_37wrapped_merge_sort_block_merge_configINS0_14default_configEiN2at4cuda3cub6detail10OpaqueTypeILi2EEEEEPijNS1_19radix_merge_compareILb0ELb1EiNS0_19identity_decomposerEEEEEvT0_T1_jPSH_T2_SH_.has_dyn_sized_stack, 0
	.set _ZN7rocprim17ROCPRIM_304000_NS6detail45device_block_merge_mergepath_partition_kernelINS1_37wrapped_merge_sort_block_merge_configINS0_14default_configEiN2at4cuda3cub6detail10OpaqueTypeILi2EEEEEPijNS1_19radix_merge_compareILb0ELb1EiNS0_19identity_decomposerEEEEEvT0_T1_jPSH_T2_SH_.has_recursion, 0
	.set _ZN7rocprim17ROCPRIM_304000_NS6detail45device_block_merge_mergepath_partition_kernelINS1_37wrapped_merge_sort_block_merge_configINS0_14default_configEiN2at4cuda3cub6detail10OpaqueTypeILi2EEEEEPijNS1_19radix_merge_compareILb0ELb1EiNS0_19identity_decomposerEEEEEvT0_T1_jPSH_T2_SH_.has_indirect_call, 0
	.section	.AMDGPU.csdata,"",@progbits
; Kernel info:
; codeLenInByte = 376
; TotalNumSgprs: 12
; NumVgprs: 17
; ScratchSize: 0
; MemoryBound: 0
; FloatMode: 240
; IeeeMode: 1
; LDSByteSize: 0 bytes/workgroup (compile time only)
; SGPRBlocks: 1
; VGPRBlocks: 4
; NumSGPRsForWavesPerEU: 12
; NumVGPRsForWavesPerEU: 17
; Occupancy: 10
; WaveLimiterHint : 0
; COMPUTE_PGM_RSRC2:SCRATCH_EN: 0
; COMPUTE_PGM_RSRC2:USER_SGPR: 6
; COMPUTE_PGM_RSRC2:TRAP_HANDLER: 0
; COMPUTE_PGM_RSRC2:TGID_X_EN: 1
; COMPUTE_PGM_RSRC2:TGID_Y_EN: 0
; COMPUTE_PGM_RSRC2:TGID_Z_EN: 0
; COMPUTE_PGM_RSRC2:TIDIG_COMP_CNT: 0
	.section	.text._ZN7rocprim17ROCPRIM_304000_NS6detail35device_block_merge_mergepath_kernelINS1_37wrapped_merge_sort_block_merge_configINS0_14default_configEiN2at4cuda3cub6detail10OpaqueTypeILi2EEEEEPiSC_PSA_SD_jNS1_19radix_merge_compareILb0ELb1EiNS0_19identity_decomposerEEEEEvT0_T1_T2_T3_T4_SL_jT5_PKSL_NS1_7vsmem_tE,"axG",@progbits,_ZN7rocprim17ROCPRIM_304000_NS6detail35device_block_merge_mergepath_kernelINS1_37wrapped_merge_sort_block_merge_configINS0_14default_configEiN2at4cuda3cub6detail10OpaqueTypeILi2EEEEEPiSC_PSA_SD_jNS1_19radix_merge_compareILb0ELb1EiNS0_19identity_decomposerEEEEEvT0_T1_T2_T3_T4_SL_jT5_PKSL_NS1_7vsmem_tE,comdat
	.protected	_ZN7rocprim17ROCPRIM_304000_NS6detail35device_block_merge_mergepath_kernelINS1_37wrapped_merge_sort_block_merge_configINS0_14default_configEiN2at4cuda3cub6detail10OpaqueTypeILi2EEEEEPiSC_PSA_SD_jNS1_19radix_merge_compareILb0ELb1EiNS0_19identity_decomposerEEEEEvT0_T1_T2_T3_T4_SL_jT5_PKSL_NS1_7vsmem_tE ; -- Begin function _ZN7rocprim17ROCPRIM_304000_NS6detail35device_block_merge_mergepath_kernelINS1_37wrapped_merge_sort_block_merge_configINS0_14default_configEiN2at4cuda3cub6detail10OpaqueTypeILi2EEEEEPiSC_PSA_SD_jNS1_19radix_merge_compareILb0ELb1EiNS0_19identity_decomposerEEEEEvT0_T1_T2_T3_T4_SL_jT5_PKSL_NS1_7vsmem_tE
	.globl	_ZN7rocprim17ROCPRIM_304000_NS6detail35device_block_merge_mergepath_kernelINS1_37wrapped_merge_sort_block_merge_configINS0_14default_configEiN2at4cuda3cub6detail10OpaqueTypeILi2EEEEEPiSC_PSA_SD_jNS1_19radix_merge_compareILb0ELb1EiNS0_19identity_decomposerEEEEEvT0_T1_T2_T3_T4_SL_jT5_PKSL_NS1_7vsmem_tE
	.p2align	8
	.type	_ZN7rocprim17ROCPRIM_304000_NS6detail35device_block_merge_mergepath_kernelINS1_37wrapped_merge_sort_block_merge_configINS0_14default_configEiN2at4cuda3cub6detail10OpaqueTypeILi2EEEEEPiSC_PSA_SD_jNS1_19radix_merge_compareILb0ELb1EiNS0_19identity_decomposerEEEEEvT0_T1_T2_T3_T4_SL_jT5_PKSL_NS1_7vsmem_tE,@function
_ZN7rocprim17ROCPRIM_304000_NS6detail35device_block_merge_mergepath_kernelINS1_37wrapped_merge_sort_block_merge_configINS0_14default_configEiN2at4cuda3cub6detail10OpaqueTypeILi2EEEEEPiSC_PSA_SD_jNS1_19radix_merge_compareILb0ELb1EiNS0_19identity_decomposerEEEEEvT0_T1_T2_T3_T4_SL_jT5_PKSL_NS1_7vsmem_tE: ; @_ZN7rocprim17ROCPRIM_304000_NS6detail35device_block_merge_mergepath_kernelINS1_37wrapped_merge_sort_block_merge_configINS0_14default_configEiN2at4cuda3cub6detail10OpaqueTypeILi2EEEEEPiSC_PSA_SD_jNS1_19radix_merge_compareILb0ELb1EiNS0_19identity_decomposerEEEEEvT0_T1_T2_T3_T4_SL_jT5_PKSL_NS1_7vsmem_tE
; %bb.0:
	s_load_dwordx2 s[10:11], s[4:5], 0x40
	s_load_dwordx4 s[20:23], s[4:5], 0x20
	s_add_u32 s2, s4, 64
	s_addc_u32 s3, s5, 0
	s_waitcnt lgkmcnt(0)
	s_mul_i32 s0, s11, s8
	s_add_i32 s0, s0, s7
	s_mul_i32 s0, s0, s10
	s_add_i32 s0, s0, s6
	s_cmp_ge_u32 s0, s22
	s_cbranch_scc1 .LBB21_105
; %bb.1:
	s_load_dwordx8 s[12:19], s[4:5], 0x0
	s_load_dwordx2 s[8:9], s[4:5], 0x30
	s_lshr_b32 s11, s20, 10
	s_cmp_lg_u32 s0, s11
	s_mov_b32 s1, 0
	s_cselect_b64 s[24:25], -1, 0
	s_lshl_b64 s[4:5], s[0:1], 2
	s_waitcnt lgkmcnt(0)
	s_add_u32 s4, s8, s4
	s_addc_u32 s5, s9, s5
	s_load_dwordx2 s[26:27], s[4:5], 0x0
	s_lshr_b32 s4, s21, 9
	s_and_b32 s4, s4, 0x7ffffe
	s_sub_i32 s4, 0, s4
	s_and_b32 s5, s0, s4
	s_lshl_b32 s7, s5, 10
	s_lshl_b32 s22, s0, 10
	;; [unrolled: 1-line block ×3, first 2 shown]
	s_sub_i32 s8, s22, s7
	s_add_i32 s5, s5, s21
	s_add_i32 s8, s5, s8
	s_waitcnt lgkmcnt(0)
	s_sub_i32 s9, s8, s26
	s_sub_i32 s8, s8, s27
	;; [unrolled: 1-line block ×3, first 2 shown]
	s_min_u32 s28, s20, s9
	s_addk_i32 s8, 0x400
	s_or_b32 s4, s0, s4
	s_min_u32 s7, s20, s5
	s_add_i32 s5, s5, s21
	s_cmp_eq_u32 s4, -1
	s_cselect_b32 s4, s5, s8
	s_cselect_b32 s5, s7, s27
	s_min_u32 s4, s4, s20
	s_mov_b32 s27, s1
	s_sub_i32 s33, s5, s26
	s_sub_i32 s34, s4, s28
	s_lshl_b64 s[8:9], s[26:27], 2
	s_add_u32 s5, s12, s8
	s_mov_b32 s29, s1
	s_addc_u32 s7, s13, s9
	s_lshl_b64 s[8:9], s[28:29], 2
	s_add_u32 s4, s12, s8
	v_mov_b32_e32 v10, 0
	global_load_dword v1, v10, s[2:3] offset:14
	s_addc_u32 s8, s13, s9
	s_cmp_lt_u32 s6, s10
	s_cselect_b32 s1, 12, 18
	s_add_u32 s2, s2, s1
	s_addc_u32 s3, s3, 0
	global_load_ushort v2, v10, s[2:3]
	s_cmp_eq_u32 s0, s11
	v_cmp_gt_u32_e32 vcc, s33, v0
	v_lshlrev_b32_e32 v13, 2, v0
	s_waitcnt vmcnt(1)
	v_lshrrev_b32_e32 v3, 16, v1
	v_and_b32_e32 v1, 0xffff, v1
	v_mul_lo_u32 v1, v1, v3
	s_waitcnt vmcnt(0)
	v_mul_lo_u32 v11, v1, v2
	v_add_u32_e32 v9, v11, v0
	s_cbranch_scc1 .LBB21_3
; %bb.2:
	v_mov_b32_e32 v1, s7
	v_add_co_u32_e64 v3, s[0:1], s5, v13
	v_subrev_u32_e32 v2, s33, v0
	v_addc_co_u32_e64 v1, s[0:1], 0, v1, s[0:1]
	v_lshlrev_b32_e32 v2, 2, v2
	v_mov_b32_e32 v4, s8
	v_add_co_u32_e64 v5, s[0:1], s4, v2
	v_addc_co_u32_e64 v2, s[0:1], 0, v4, s[0:1]
	v_cndmask_b32_e32 v2, v2, v1, vcc
	v_cndmask_b32_e32 v1, v5, v3, vcc
	global_load_dword v1, v[1:2], off
	v_lshlrev_b64 v[2:3], 2, v[9:10]
	v_mov_b32_e32 v4, s7
	v_add_co_u32_e32 v5, vcc, s5, v2
	v_addc_co_u32_e32 v4, vcc, v4, v3, vcc
	v_subrev_co_u32_e32 v2, vcc, s33, v9
	v_mov_b32_e32 v3, v10
	v_lshlrev_b64 v[2:3], 2, v[2:3]
	v_mov_b32_e32 v6, s8
	v_add_co_u32_e64 v2, s[0:1], s4, v2
	v_addc_co_u32_e64 v3, s[0:1], v6, v3, s[0:1]
	v_cndmask_b32_e32 v3, v3, v4, vcc
	v_cndmask_b32_e32 v2, v2, v5, vcc
	v_add_u32_e32 v4, v9, v11
	v_mov_b32_e32 v5, v10
	v_lshlrev_b64 v[5:6], 2, v[4:5]
	global_load_dword v2, v[2:3], off
	v_mov_b32_e32 v3, s7
	v_add_co_u32_e32 v7, vcc, s5, v5
	v_addc_co_u32_e32 v3, vcc, v3, v6, vcc
	v_subrev_co_u32_e32 v5, vcc, s33, v4
	v_mov_b32_e32 v6, v10
	v_lshlrev_b64 v[5:6], 2, v[5:6]
	v_mov_b32_e32 v8, s8
	v_add_co_u32_e64 v5, s[0:1], s4, v5
	v_addc_co_u32_e64 v6, s[0:1], v8, v6, s[0:1]
	v_cndmask_b32_e32 v6, v6, v3, vcc
	v_cndmask_b32_e32 v5, v5, v7, vcc
	global_load_dword v3, v[5:6], off
	v_add_u32_e32 v5, v4, v11
	v_mov_b32_e32 v6, v10
	v_lshlrev_b64 v[6:7], 2, v[5:6]
	v_mov_b32_e32 v4, s7
	v_add_co_u32_e32 v8, vcc, s5, v6
	v_addc_co_u32_e32 v4, vcc, v4, v7, vcc
	v_subrev_co_u32_e32 v6, vcc, s33, v5
	v_mov_b32_e32 v7, v10
	v_lshlrev_b64 v[6:7], 2, v[6:7]
	v_mov_b32_e32 v12, s8
	v_add_co_u32_e64 v6, s[0:1], s4, v6
	v_addc_co_u32_e64 v7, s[0:1], v12, v7, s[0:1]
	v_cndmask_b32_e32 v7, v7, v4, vcc
	v_cndmask_b32_e32 v6, v6, v8, vcc
	global_load_dword v4, v[6:7], off
	v_add_u32_e32 v6, v5, v11
	v_mov_b32_e32 v7, v10
	v_lshlrev_b64 v[7:8], 2, v[6:7]
	;; [unrolled: 15-line block ×4, first 2 shown]
	v_mov_b32_e32 v12, s7
	v_add_co_u32_e32 v15, vcc, s5, v7
	v_addc_co_u32_e32 v12, vcc, v12, v8, vcc
	v_subrev_co_u32_e32 v7, vcc, s33, v14
	v_mov_b32_e32 v8, v10
	v_lshlrev_b64 v[7:8], 2, v[7:8]
	v_mov_b32_e32 v16, s8
	v_add_co_u32_e64 v7, s[0:1], s4, v7
	v_cndmask_b32_e32 v7, v7, v15, vcc
	v_add_u32_e32 v14, v14, v11
	v_mov_b32_e32 v15, v10
	v_addc_co_u32_e64 v8, s[0:1], v16, v8, s[0:1]
	v_lshlrev_b64 v[15:16], 2, v[14:15]
	v_cndmask_b32_e32 v8, v8, v12, vcc
	global_load_dword v7, v[7:8], off
	v_mov_b32_e32 v8, s7
	v_add_co_u32_e32 v12, vcc, s5, v15
	v_addc_co_u32_e32 v8, vcc, v8, v16, vcc
	v_subrev_co_u32_e32 v14, vcc, s33, v14
	v_mov_b32_e32 v15, v10
	v_lshlrev_b64 v[14:15], 2, v[14:15]
	v_mov_b32_e32 v10, s8
	v_add_co_u32_e64 v14, s[0:1], s4, v14
	v_addc_co_u32_e64 v10, s[0:1], v10, v15, s[0:1]
	v_cndmask_b32_e32 v15, v10, v8, vcc
	v_cndmask_b32_e32 v14, v14, v12, vcc
	global_load_dword v8, v[14:15], off
	s_add_i32 s21, s34, s33
	s_cbranch_execz .LBB21_4
	s_branch .LBB21_21
.LBB21_3:
                                        ; implicit-def: $vgpr1_vgpr2_vgpr3_vgpr4_vgpr5_vgpr6_vgpr7_vgpr8
                                        ; implicit-def: $sgpr21
.LBB21_4:
	s_add_i32 s21, s34, s33
	s_waitcnt vmcnt(7)
	v_mov_b32_e32 v1, 0
	v_cmp_gt_u32_e32 vcc, s21, v0
	s_waitcnt vmcnt(6)
	v_mov_b32_e32 v2, v1
	s_waitcnt vmcnt(5)
	v_mov_b32_e32 v3, v1
	;; [unrolled: 2-line block ×7, first 2 shown]
	s_and_saveexec_b64 s[0:1], vcc
	s_cbranch_execz .LBB21_6
; %bb.5:
	v_mov_b32_e32 v2, s7
	v_add_co_u32_e32 v4, vcc, s5, v13
	v_subrev_u32_e32 v3, s33, v0
	v_addc_co_u32_e32 v2, vcc, 0, v2, vcc
	v_lshlrev_b32_e32 v3, 2, v3
	v_mov_b32_e32 v5, s8
	v_add_co_u32_e32 v6, vcc, s4, v3
	v_addc_co_u32_e32 v3, vcc, 0, v5, vcc
	v_cmp_gt_u32_e32 vcc, s33, v0
	v_cndmask_b32_e32 v3, v3, v2, vcc
	v_cndmask_b32_e32 v2, v6, v4, vcc
	global_load_dword v14, v[2:3], off
	v_mov_b32_e32 v15, v1
	v_mov_b32_e32 v16, v1
	;; [unrolled: 1-line block ×7, first 2 shown]
	s_waitcnt vmcnt(0)
	v_mov_b32_e32 v1, v14
	v_mov_b32_e32 v2, v15
	;; [unrolled: 1-line block ×8, first 2 shown]
.LBB21_6:
	s_or_b64 exec, exec, s[0:1]
	v_cmp_gt_u32_e32 vcc, s21, v9
	s_and_saveexec_b64 s[2:3], vcc
	s_cbranch_execz .LBB21_8
; %bb.7:
	v_mov_b32_e32 v10, 0
	v_lshlrev_b64 v[14:15], 2, v[9:10]
	v_mov_b32_e32 v2, s7
	v_add_co_u32_e32 v12, vcc, s5, v14
	v_addc_co_u32_e32 v2, vcc, v2, v15, vcc
	v_subrev_co_u32_e32 v14, vcc, s33, v9
	v_mov_b32_e32 v15, v10
	v_lshlrev_b64 v[14:15], 2, v[14:15]
	v_mov_b32_e32 v10, s8
	v_add_co_u32_e64 v14, s[0:1], s4, v14
	v_addc_co_u32_e64 v10, s[0:1], v10, v15, s[0:1]
	v_cndmask_b32_e32 v15, v10, v2, vcc
	v_cndmask_b32_e32 v14, v14, v12, vcc
	global_load_dword v2, v[14:15], off
.LBB21_8:
	s_or_b64 exec, exec, s[2:3]
	v_add_u32_e32 v9, v9, v11
	v_cmp_gt_u32_e32 vcc, s21, v9
	s_and_saveexec_b64 s[2:3], vcc
	s_cbranch_execz .LBB21_10
; %bb.9:
	v_mov_b32_e32 v10, 0
	v_lshlrev_b64 v[14:15], 2, v[9:10]
	v_mov_b32_e32 v3, s7
	v_add_co_u32_e32 v12, vcc, s5, v14
	v_addc_co_u32_e32 v3, vcc, v3, v15, vcc
	v_subrev_co_u32_e32 v14, vcc, s33, v9
	v_mov_b32_e32 v15, v10
	v_lshlrev_b64 v[14:15], 2, v[14:15]
	v_mov_b32_e32 v10, s8
	v_add_co_u32_e64 v14, s[0:1], s4, v14
	v_addc_co_u32_e64 v10, s[0:1], v10, v15, s[0:1]
	v_cndmask_b32_e32 v15, v10, v3, vcc
	v_cndmask_b32_e32 v14, v14, v12, vcc
	global_load_dword v3, v[14:15], off
.LBB21_10:
	s_or_b64 exec, exec, s[2:3]
	v_add_u32_e32 v9, v9, v11
	;; [unrolled: 21-line block ×6, first 2 shown]
	v_cmp_gt_u32_e32 vcc, s21, v9
	s_and_saveexec_b64 s[2:3], vcc
	s_cbranch_execz .LBB21_20
; %bb.19:
	v_mov_b32_e32 v10, 0
	v_lshlrev_b64 v[11:12], 2, v[9:10]
	v_mov_b32_e32 v8, s7
	v_add_co_u32_e32 v11, vcc, s5, v11
	v_addc_co_u32_e32 v12, vcc, v8, v12, vcc
	v_subrev_co_u32_e32 v9, vcc, s33, v9
	v_lshlrev_b64 v[8:9], 2, v[9:10]
	v_mov_b32_e32 v10, s8
	v_add_co_u32_e64 v8, s[0:1], s4, v8
	v_addc_co_u32_e64 v9, s[0:1], v10, v9, s[0:1]
	v_cndmask_b32_e32 v9, v9, v12, vcc
	v_cndmask_b32_e32 v8, v8, v11, vcc
	global_load_dword v8, v[8:9], off
.LBB21_20:
	s_or_b64 exec, exec, s[2:3]
.LBB21_21:
	v_lshlrev_b32_e32 v14, 3, v0
	v_min_u32_e32 v10, s21, v14
	v_sub_u32_e64 v9, v10, s34 clamp
	v_min_u32_e32 v11, s33, v10
	v_cmp_lt_u32_e32 vcc, v9, v11
	s_waitcnt vmcnt(0)
	ds_write2st64_b32 v13, v1, v2 offset1:2
	ds_write2st64_b32 v13, v3, v4 offset0:4 offset1:6
	ds_write2st64_b32 v13, v5, v6 offset0:8 offset1:10
	;; [unrolled: 1-line block ×3, first 2 shown]
	s_waitcnt lgkmcnt(0)
	s_barrier
	s_and_saveexec_b64 s[0:1], vcc
	s_cbranch_execz .LBB21_25
; %bb.22:
	v_lshlrev_b32_e32 v12, 2, v10
	v_lshl_add_u32 v12, s33, 2, v12
	s_mov_b64 s[2:3], 0
.LBB21_23:                              ; =>This Inner Loop Header: Depth=1
	v_add_u32_e32 v15, v11, v9
	v_lshrrev_b32_e32 v15, 1, v15
	v_not_b32_e32 v16, v15
	v_lshlrev_b32_e32 v17, 2, v15
	v_lshl_add_u32 v16, v16, 2, v12
	ds_read_b32 v17, v17
	ds_read_b32 v16, v16
	v_add_u32_e32 v18, 1, v15
	s_waitcnt lgkmcnt(1)
	v_and_b32_e32 v17, s23, v17
	s_waitcnt lgkmcnt(0)
	v_and_b32_e32 v16, s23, v16
	v_cmp_gt_i32_e32 vcc, v17, v16
	v_cndmask_b32_e32 v11, v11, v15, vcc
	v_cndmask_b32_e32 v9, v18, v9, vcc
	v_cmp_ge_u32_e32 vcc, v9, v11
	s_or_b64 s[2:3], vcc, s[2:3]
	s_andn2_b64 exec, exec, s[2:3]
	s_cbranch_execnz .LBB21_23
; %bb.24:
	s_or_b64 exec, exec, s[2:3]
.LBB21_25:
	s_or_b64 exec, exec, s[0:1]
	v_sub_u32_e32 v10, v10, v9
	v_add_u32_e32 v10, s33, v10
	v_cmp_ge_u32_e32 vcc, s33, v9
	v_cmp_ge_u32_e64 s[0:1], s21, v10
	s_or_b64 s[0:1], vcc, s[0:1]
	v_mov_b32_e32 v15, 0
	v_mov_b32_e32 v16, 0
	;; [unrolled: 1-line block ×8, first 2 shown]
	s_and_saveexec_b64 s[30:31], s[0:1]
	s_cbranch_execz .LBB21_31
; %bb.26:
	v_cmp_gt_u32_e32 vcc, s33, v9
                                        ; implicit-def: $vgpr1
	s_and_saveexec_b64 s[0:1], vcc
; %bb.27:
	v_lshlrev_b32_e32 v1, 2, v9
	ds_read_b32 v1, v1
; %bb.28:
	s_or_b64 exec, exec, s[0:1]
	v_cmp_le_u32_e64 s[0:1], s21, v10
	v_cmp_gt_u32_e64 s[2:3], s21, v10
                                        ; implicit-def: $vgpr2
	s_and_saveexec_b64 s[4:5], s[2:3]
; %bb.29:
	v_lshlrev_b32_e32 v2, 2, v10
	ds_read_b32 v2, v2
; %bb.30:
	s_or_b64 exec, exec, s[4:5]
	s_waitcnt lgkmcnt(0)
	v_and_b32_e32 v3, s23, v2
	v_and_b32_e32 v4, s23, v1
	v_cmp_le_i32_e64 s[2:3], v4, v3
	s_and_b64 s[2:3], vcc, s[2:3]
	s_or_b64 vcc, s[0:1], s[2:3]
	v_mov_b32_e32 v4, s21
	v_mov_b32_e32 v5, s33
	v_cndmask_b32_e32 v22, v10, v9, vcc
	v_cndmask_b32_e32 v3, v4, v5, vcc
	v_add_u32_e32 v6, 1, v22
	v_add_u32_e32 v3, -1, v3
	v_min_u32_e32 v3, v6, v3
	v_lshlrev_b32_e32 v3, 2, v3
	ds_read_b32 v3, v3
	v_cndmask_b32_e32 v8, v6, v10, vcc
	v_cndmask_b32_e32 v6, v9, v6, vcc
	v_cmp_gt_u32_e64 s[2:3], s33, v6
	v_cmp_le_u32_e64 s[0:1], s21, v8
	s_waitcnt lgkmcnt(0)
	v_cndmask_b32_e32 v7, v3, v2, vcc
	v_cndmask_b32_e32 v3, v1, v3, vcc
	v_and_b32_e32 v9, s23, v7
	v_and_b32_e32 v10, s23, v3
	v_cmp_le_i32_e64 s[4:5], v10, v9
	s_and_b64 s[2:3], s[2:3], s[4:5]
	s_or_b64 s[0:1], s[0:1], s[2:3]
	v_cndmask_b32_e64 v21, v8, v6, s[0:1]
	v_cndmask_b32_e64 v9, v4, v5, s[0:1]
	v_add_u32_e32 v10, 1, v21
	v_add_u32_e32 v9, -1, v9
	v_min_u32_e32 v9, v10, v9
	v_lshlrev_b32_e32 v9, 2, v9
	ds_read_b32 v9, v9
	v_cndmask_b32_e64 v8, v10, v8, s[0:1]
	v_cndmask_b32_e64 v6, v6, v10, s[0:1]
	v_cmp_gt_u32_e64 s[4:5], s33, v6
	v_cmp_le_u32_e64 s[2:3], s21, v8
	s_waitcnt lgkmcnt(0)
	v_cndmask_b32_e64 v11, v9, v7, s[0:1]
	v_cndmask_b32_e64 v9, v3, v9, s[0:1]
	v_and_b32_e32 v10, s23, v11
	v_and_b32_e32 v12, s23, v9
	v_cmp_le_i32_e64 s[6:7], v12, v10
	s_and_b64 s[4:5], s[4:5], s[6:7]
	s_or_b64 s[2:3], s[2:3], s[4:5]
	v_cndmask_b32_e64 v20, v8, v6, s[2:3]
	v_cndmask_b32_e64 v10, v4, v5, s[2:3]
	v_add_u32_e32 v12, 1, v20
	v_add_u32_e32 v10, -1, v10
	v_min_u32_e32 v10, v12, v10
	v_lshlrev_b32_e32 v10, 2, v10
	ds_read_b32 v10, v10
	v_cndmask_b32_e64 v8, v12, v8, s[2:3]
	v_cndmask_b32_e64 v6, v6, v12, s[2:3]
	v_cmp_gt_u32_e64 s[6:7], s33, v6
	v_cmp_le_u32_e64 s[4:5], s21, v8
	s_waitcnt lgkmcnt(0)
	v_cndmask_b32_e64 v15, v10, v11, s[2:3]
	v_cndmask_b32_e64 v10, v9, v10, s[2:3]
	;; [unrolled: 19-line block ×4, first 2 shown]
	v_and_b32_e32 v16, s23, v24
	v_and_b32_e32 v17, s23, v25
	v_cmp_le_i32_e64 s[12:13], v17, v16
	s_and_b64 s[10:11], s[10:11], s[12:13]
	s_or_b64 s[8:9], s[8:9], s[10:11]
	v_cndmask_b32_e64 v17, v8, v6, s[8:9]
	v_cndmask_b32_e64 v16, v4, v5, s[8:9]
	v_add_u32_e32 v26, 1, v17
	v_add_u32_e32 v16, -1, v16
	v_min_u32_e32 v16, v26, v16
	v_lshlrev_b32_e32 v16, 2, v16
	ds_read_b32 v16, v16
	v_cndmask_b32_e32 v1, v2, v1, vcc
	v_cndmask_b32_e64 v2, v7, v3, s[0:1]
	v_cndmask_b32_e64 v3, v11, v9, s[2:3]
	;; [unrolled: 1-line block ×3, first 2 shown]
	s_waitcnt lgkmcnt(0)
	v_cndmask_b32_e64 v9, v16, v24, s[8:9]
	v_cndmask_b32_e64 v11, v25, v16, s[8:9]
	;; [unrolled: 1-line block ×3, first 2 shown]
	v_and_b32_e32 v6, s23, v9
	v_and_b32_e32 v7, s23, v11
	v_cmp_gt_u32_e64 s[0:1], s33, v26
	v_cmp_le_i32_e64 s[2:3], v7, v6
	v_cmp_le_u32_e32 vcc, s21, v8
	s_and_b64 s[0:1], s[0:1], s[2:3]
	s_or_b64 vcc, vcc, s[0:1]
	v_cndmask_b32_e32 v16, v8, v26, vcc
	v_cndmask_b32_e32 v4, v4, v5, vcc
	v_add_u32_e32 v27, 1, v16
	v_add_u32_e32 v4, -1, v4
	v_min_u32_e32 v4, v27, v4
	v_lshlrev_b32_e32 v4, 2, v4
	ds_read_b32 v28, v4
	v_cndmask_b32_e64 v4, v15, v10, s[4:5]
	v_cndmask_b32_e32 v7, v9, v11, vcc
	v_cndmask_b32_e64 v5, v23, v12, s[6:7]
	v_cndmask_b32_e32 v8, v27, v8, vcc
	s_waitcnt lgkmcnt(0)
	v_cndmask_b32_e32 v9, v28, v9, vcc
	v_cndmask_b32_e32 v10, v11, v28, vcc
	;; [unrolled: 1-line block ×3, first 2 shown]
	v_and_b32_e32 v12, s23, v9
	v_and_b32_e32 v15, s23, v10
	v_cmp_gt_u32_e64 s[0:1], s33, v11
	v_cmp_le_i32_e64 s[2:3], v15, v12
	v_cmp_le_u32_e32 vcc, s21, v8
	s_and_b64 s[0:1], s[0:1], s[2:3]
	s_or_b64 vcc, vcc, s[0:1]
	v_cndmask_b32_e64 v6, v24, v25, s[8:9]
	v_cndmask_b32_e32 v15, v8, v11, vcc
	v_cndmask_b32_e32 v8, v9, v10, vcc
.LBB21_31:
	s_or_b64 exec, exec, s[30:31]
	s_lshl_b64 s[0:1], s[26:27], 1
	s_add_u32 s8, s16, s0
	s_addc_u32 s9, s17, s1
	s_lshl_b64 s[0:1], s[28:29], 1
	s_add_u32 s6, s16, s0
	v_cndmask_b32_e64 v9, 0, 1, s[24:25]
	s_addc_u32 s7, s17, s1
	v_cmp_gt_u32_e64 s[4:5], s33, v0
	v_cmp_le_u32_e64 s[2:3], s33, v0
	v_cmp_ne_u32_e64 s[0:1], 1, v9
	s_andn2_b64 vcc, exec, s[24:25]
	v_lshlrev_b32_e32 v12, 1, v0
	s_barrier
	s_cbranch_vccnz .LBB21_33
; %bb.32:
	v_mov_b32_e32 v9, s9
	v_add_co_u32_e32 v11, vcc, s8, v12
	v_subrev_u32_e32 v10, s33, v0
	v_addc_co_u32_e32 v9, vcc, 0, v9, vcc
	v_lshlrev_b32_e32 v10, 1, v10
	v_mov_b32_e32 v23, s7
	v_add_co_u32_e32 v24, vcc, s6, v10
	v_addc_co_u32_e32 v10, vcc, 0, v23, vcc
	v_cndmask_b32_e64 v10, v10, v9, s[4:5]
	v_cndmask_b32_e64 v9, v24, v11, s[4:5]
	global_load_ushort v11, v[9:10], off
	v_or_b32_e32 v9, 0x80, v0
	v_subrev_u32_e32 v10, s33, v9
	v_min_u32_e32 v10, v9, v10
	v_cmp_gt_u32_e32 vcc, s33, v9
	v_mov_b32_e32 v26, s6
	v_mov_b32_e32 v27, s8
	;; [unrolled: 1-line block ×4, first 2 shown]
	v_cndmask_b32_e32 v9, v26, v27, vcc
	v_lshlrev_b32_e32 v10, 1, v10
	v_cndmask_b32_e32 v23, v24, v25, vcc
	v_add_co_u32_e32 v9, vcc, v9, v10
	v_addc_co_u32_e32 v10, vcc, 0, v23, vcc
	global_load_ushort v23, v[9:10], off
	v_or_b32_e32 v9, 0x100, v0
	v_subrev_u32_e32 v10, s33, v9
	v_min_u32_e32 v10, v9, v10
	v_cmp_gt_u32_e32 vcc, s33, v9
	v_cndmask_b32_e32 v9, v26, v27, vcc
	v_lshlrev_b32_e32 v10, 1, v10
	v_cndmask_b32_e32 v28, v24, v25, vcc
	v_add_co_u32_e32 v9, vcc, v9, v10
	v_addc_co_u32_e32 v10, vcc, 0, v28, vcc
	global_load_ushort v28, v[9:10], off
	v_or_b32_e32 v9, 0x180, v0
	v_subrev_u32_e32 v10, s33, v9
	v_min_u32_e32 v10, v9, v10
	v_cmp_gt_u32_e32 vcc, s33, v9
	;; [unrolled: 10-line block ×5, first 2 shown]
	v_cndmask_b32_e32 v9, v26, v27, vcc
	v_lshlrev_b32_e32 v10, 1, v10
	v_cndmask_b32_e32 v32, v24, v25, vcc
	v_add_co_u32_e32 v9, vcc, v9, v10
	v_addc_co_u32_e32 v10, vcc, 0, v32, vcc
	global_load_ushort v9, v[9:10], off
	s_mov_b64 s[4:5], -1
	s_waitcnt vmcnt(6)
	ds_write_b16 v12, v11
	s_waitcnt vmcnt(5)
	ds_write_b16 v12, v23 offset:256
	s_waitcnt vmcnt(4)
	ds_write_b16 v12, v28 offset:512
	;; [unrolled: 2-line block ×6, first 2 shown]
	v_or_b32_e32 v23, 0x380, v0
	v_subrev_u32_e32 v9, s33, v23
	v_cmp_gt_u32_e32 vcc, s33, v23
	v_min_u32_e32 v11, v23, v9
	v_cndmask_b32_e32 v10, v24, v25, vcc
	v_cndmask_b32_e32 v9, v26, v27, vcc
	s_cbranch_execz .LBB21_34
	s_branch .LBB21_67
.LBB21_33:
	s_mov_b64 s[4:5], 0
                                        ; implicit-def: $vgpr23
                                        ; implicit-def: $vgpr9_vgpr10
                                        ; implicit-def: $vgpr11
.LBB21_34:
	s_and_saveexec_b64 s[4:5], s[2:3]
	s_xor_b64 s[2:3], exec, s[4:5]
	s_cbranch_execz .LBB21_38
; %bb.35:
	v_subrev_u32_e32 v9, s33, v0
	v_cmp_gt_u32_e32 vcc, s34, v9
	s_and_saveexec_b64 s[4:5], vcc
	s_cbranch_execz .LBB21_37
; %bb.36:
	v_lshlrev_b32_e32 v9, 1, v9
	global_load_ushort v9, v9, s[6:7]
	s_waitcnt vmcnt(0)
	ds_write_b16 v12, v9
.LBB21_37:
	s_or_b64 exec, exec, s[4:5]
.LBB21_38:
	s_andn2_saveexec_b64 s[2:3], s[2:3]
	s_cbranch_execz .LBB21_40
; %bb.39:
	global_load_ushort v9, v12, s[8:9]
	v_sub_u32_e32 v10, v13, v12
	s_waitcnt vmcnt(0)
	ds_write_b16 v10, v9
.LBB21_40:
	s_or_b64 exec, exec, s[2:3]
	v_or_b32_e32 v11, 0x80, v0
	v_mov_b32_e32 v9, s26
	v_cmp_le_u32_e32 vcc, s33, v11
	s_mov_b64 s[4:5], -1
	v_mov_b32_e32 v10, s27
	s_and_saveexec_b64 s[2:3], vcc
; %bb.41:
	v_subrev_u32_e32 v11, s33, v11
	v_cmp_gt_u32_e32 vcc, s34, v11
	v_mov_b32_e32 v9, s28
	v_mov_b32_e32 v10, s29
	s_orn2_b64 s[4:5], vcc, exec
; %bb.42:
	s_or_b64 exec, exec, s[2:3]
	s_and_saveexec_b64 s[2:3], s[4:5]
	s_cbranch_execz .LBB21_44
; %bb.43:
	v_lshlrev_b64 v[9:10], 1, v[9:10]
	v_mov_b32_e32 v23, s17
	v_add_co_u32_e32 v9, vcc, s16, v9
	v_addc_co_u32_e32 v10, vcc, v23, v10, vcc
	v_lshlrev_b32_e32 v11, 1, v11
	v_add_co_u32_e32 v9, vcc, v9, v11
	v_addc_co_u32_e32 v10, vcc, 0, v10, vcc
	global_load_ushort v9, v[9:10], off
	v_sub_u32_e32 v10, v13, v12
	s_waitcnt vmcnt(0)
	ds_write_b16 v10, v9 offset:256
.LBB21_44:
	s_or_b64 exec, exec, s[2:3]
	v_or_b32_e32 v11, 0x100, v0
	v_mov_b32_e32 v9, s26
	v_cmp_le_u32_e32 vcc, s33, v11
	s_mov_b64 s[4:5], -1
	v_mov_b32_e32 v10, s27
	s_and_saveexec_b64 s[2:3], vcc
; %bb.45:
	v_subrev_u32_e32 v11, s33, v11
	v_cmp_gt_u32_e32 vcc, s34, v11
	v_mov_b32_e32 v9, s28
	v_mov_b32_e32 v10, s29
	s_orn2_b64 s[4:5], vcc, exec
; %bb.46:
	s_or_b64 exec, exec, s[2:3]
	s_and_saveexec_b64 s[2:3], s[4:5]
	s_cbranch_execz .LBB21_48
; %bb.47:
	v_lshlrev_b64 v[9:10], 1, v[9:10]
	v_mov_b32_e32 v23, s17
	v_add_co_u32_e32 v9, vcc, s16, v9
	v_addc_co_u32_e32 v10, vcc, v23, v10, vcc
	v_lshlrev_b32_e32 v11, 1, v11
	v_add_co_u32_e32 v9, vcc, v9, v11
	v_addc_co_u32_e32 v10, vcc, 0, v10, vcc
	global_load_ushort v9, v[9:10], off
	v_sub_u32_e32 v10, v13, v12
	s_waitcnt vmcnt(0)
	ds_write_b16 v10, v9 offset:512
.LBB21_48:
	;; [unrolled: 30-line block ×5, first 2 shown]
	s_or_b64 exec, exec, s[2:3]
	v_or_b32_e32 v11, 0x300, v0
	v_mov_b32_e32 v9, s26
	v_cmp_le_u32_e32 vcc, s33, v11
	s_mov_b64 s[2:3], -1
	v_mov_b32_e32 v10, s27
	s_and_saveexec_b64 s[4:5], vcc
; %bb.61:
	v_subrev_u32_e32 v11, s33, v11
	v_cmp_gt_u32_e32 vcc, s34, v11
	v_mov_b32_e32 v9, s28
	v_mov_b32_e32 v10, s29
	s_orn2_b64 s[2:3], vcc, exec
; %bb.62:
	s_or_b64 exec, exec, s[4:5]
	s_and_saveexec_b64 s[4:5], s[2:3]
	s_cbranch_execz .LBB21_64
; %bb.63:
	v_lshlrev_b64 v[9:10], 1, v[9:10]
	v_mov_b32_e32 v23, s17
	v_add_co_u32_e32 v9, vcc, s16, v9
	v_addc_co_u32_e32 v10, vcc, v23, v10, vcc
	v_lshlrev_b32_e32 v11, 1, v11
	v_add_co_u32_e32 v9, vcc, v9, v11
	v_addc_co_u32_e32 v10, vcc, 0, v10, vcc
	global_load_ushort v9, v[9:10], off
	s_waitcnt vmcnt(0)
	ds_write_b16 v12, v9 offset:1536
.LBB21_64:
	s_or_b64 exec, exec, s[4:5]
	v_or_b32_e32 v23, 0x380, v0
	v_mov_b32_e32 v10, s9
	v_cmp_le_u32_e32 vcc, s33, v23
	s_mov_b64 s[4:5], -1
	v_mov_b32_e32 v9, s8
	v_mov_b32_e32 v11, v23
	s_and_saveexec_b64 s[2:3], vcc
; %bb.65:
	v_subrev_u32_e32 v11, s33, v23
	v_cmp_gt_u32_e32 vcc, s34, v11
	v_mov_b32_e32 v10, s7
	v_mov_b32_e32 v9, s6
	s_orn2_b64 s[4:5], vcc, exec
; %bb.66:
	s_or_b64 exec, exec, s[2:3]
.LBB21_67:
	s_and_saveexec_b64 s[2:3], s[4:5]
	s_cbranch_execz .LBB21_69
; %bb.68:
	v_mov_b32_e32 v12, 0
	v_lshlrev_b64 v[11:12], 1, v[11:12]
	v_add_co_u32_e32 v9, vcc, v9, v11
	v_addc_co_u32_e32 v10, vcc, v10, v12, vcc
	global_load_ushort v9, v[9:10], off
	v_lshlrev_b32_e32 v10, 1, v23
	s_waitcnt vmcnt(0)
	ds_write_b16 v10, v9
.LBB21_69:
	s_or_b64 exec, exec, s[2:3]
	s_and_b64 vcc, exec, s[0:1]
	v_add_u32_e32 v9, s22, v14
	s_waitcnt lgkmcnt(0)
	s_barrier
	s_cbranch_vccnz .LBB21_71
; %bb.70:
	v_mov_b32_e32 v10, 0
	v_lshlrev_b64 v[11:12], 1, v[9:10]
	v_mov_b32_e32 v24, s19
	v_add_co_u32_e32 v11, vcc, s18, v11
	v_lshlrev_b32_e32 v23, 1, v22
	v_addc_co_u32_e32 v12, vcc, v24, v12, vcc
	v_lshlrev_b32_e32 v24, 1, v21
	v_lshlrev_b32_e32 v25, 1, v20
	;; [unrolled: 1-line block ×6, first 2 shown]
	ds_read_u16 v23, v23
	ds_read_u16 v30, v24
	;; [unrolled: 1-line block ×7, first 2 shown]
	s_mov_b32 s0, 0x5040100
	s_waitcnt lgkmcnt(3)
	v_perm_b32 v24, v25, v24, s0
	v_perm_b32 v23, v30, v23, s0
	s_waitcnt lgkmcnt(1)
	v_perm_b32 v25, v27, v26, s0
	s_mov_b64 s[0:1], -1
	s_waitcnt lgkmcnt(0)
	global_store_short v[11:12], v28, off offset:12
	global_store_dwordx3 v[11:12], v[23:25], off
	s_cbranch_execz .LBB21_72
	s_branch .LBB21_89
.LBB21_71:
	s_mov_b64 s[0:1], 0
.LBB21_72:
	v_cmp_gt_u32_e32 vcc, s21, v14
	s_and_saveexec_b64 s[2:3], vcc
	s_cbranch_execz .LBB21_74
; %bb.73:
	v_lshlrev_b32_e32 v12, 1, v22
	v_mov_b32_e32 v10, 0
	ds_read_u16 v12, v12
	v_lshlrev_b64 v[10:11], 1, v[9:10]
	v_mov_b32_e32 v22, s19
	v_add_co_u32_e32 v10, vcc, s18, v10
	v_addc_co_u32_e32 v11, vcc, v22, v11, vcc
	s_waitcnt lgkmcnt(0)
	global_store_short v[10:11], v12, off
.LBB21_74:
	s_or_b64 exec, exec, s[2:3]
	v_or_b32_e32 v10, 1, v14
	v_cmp_gt_u32_e32 vcc, s21, v10
	s_and_saveexec_b64 s[2:3], vcc
	s_cbranch_execz .LBB21_76
; %bb.75:
	v_lshlrev_b32_e32 v12, 1, v21
	v_mov_b32_e32 v10, 0
	ds_read_u16 v12, v12
	v_lshlrev_b64 v[10:11], 1, v[9:10]
	v_mov_b32_e32 v21, s19
	v_add_co_u32_e32 v10, vcc, s18, v10
	v_addc_co_u32_e32 v11, vcc, v21, v11, vcc
	s_waitcnt lgkmcnt(0)
	global_store_short v[10:11], v12, off offset:2
.LBB21_76:
	s_or_b64 exec, exec, s[2:3]
	v_or_b32_e32 v10, 2, v14
	v_cmp_gt_u32_e32 vcc, s21, v10
	s_and_saveexec_b64 s[2:3], vcc
	s_cbranch_execz .LBB21_78
; %bb.77:
	v_lshlrev_b32_e32 v12, 1, v20
	v_mov_b32_e32 v10, 0
	ds_read_u16 v12, v12
	v_lshlrev_b64 v[10:11], 1, v[9:10]
	v_mov_b32_e32 v20, s19
	v_add_co_u32_e32 v10, vcc, s18, v10
	v_addc_co_u32_e32 v11, vcc, v20, v11, vcc
	s_waitcnt lgkmcnt(0)
	global_store_short v[10:11], v12, off offset:4
.LBB21_78:
	;; [unrolled: 16-line block ×6, first 2 shown]
	s_or_b64 exec, exec, s[2:3]
	v_or_b32_e32 v10, 7, v14
	v_cmp_gt_u32_e32 vcc, s21, v10
	s_and_saveexec_b64 s[2:3], vcc
; %bb.87:
	v_mov_b32_e32 v10, 0
	s_or_b64 s[0:1], s[0:1], exec
; %bb.88:
	s_or_b64 exec, exec, s[2:3]
.LBB21_89:
	s_and_saveexec_b64 s[2:3], s[0:1]
	s_cbranch_execz .LBB21_91
; %bb.90:
	v_lshlrev_b32_e32 v11, 1, v15
	ds_read_u16 v11, v11
	v_lshlrev_b64 v[9:10], 1, v[9:10]
	v_mov_b32_e32 v12, s19
	v_add_co_u32_e32 v9, vcc, s18, v9
	v_addc_co_u32_e32 v10, vcc, v12, v10, vcc
	s_waitcnt lgkmcnt(0)
	global_store_short v[9:10], v11, off offset:14
.LBB21_91:
	s_or_b64 exec, exec, s[2:3]
	v_and_b32_e32 v9, 0x7c, v0
	v_lshl_add_u32 v9, v14, 2, v9
	s_waitcnt vmcnt(0)
	s_barrier
	s_barrier
	ds_write2_b32 v9, v1, v2 offset1:1
	ds_write2_b32 v9, v3, v4 offset0:2 offset1:3
	ds_write2_b32 v9, v5, v6 offset0:4 offset1:5
	ds_write2_b32 v9, v7, v8 offset0:6 offset1:7
	v_lshrrev_b32_e32 v1, 3, v0
	v_and_b32_e32 v1, 12, v1
	v_or_b32_e32 v10, 0x80, v0
	v_add_u32_e32 v11, v1, v13
	v_lshrrev_b32_e32 v1, 3, v10
	v_and_b32_e32 v1, 28, v1
	v_or_b32_e32 v9, 0x100, v0
	v_add_u32_e32 v12, v1, v13
	;; [unrolled: 4-line block ×5, first 2 shown]
	v_lshrrev_b32_e32 v1, 3, v5
	v_and_b32_e32 v1, 0x5c, v1
	v_or_b32_e32 v4, 0x300, v0
	s_mov_b32 s23, 0
	v_add_u32_e32 v17, v1, v13
	v_lshrrev_b32_e32 v1, 3, v4
	s_lshl_b64 s[0:1], s[22:23], 2
	v_and_b32_e32 v1, 0x6c, v1
	v_or_b32_e32 v3, 0x380, v0
	s_add_u32 s0, s14, s0
	v_add_u32_e32 v18, v1, v13
	v_lshrrev_b32_e32 v1, 3, v3
	s_addc_u32 s1, s15, s1
	v_and_b32_e32 v1, 0x7c, v1
	v_add_u32_e32 v19, v1, v13
	v_mov_b32_e32 v2, s1
	v_add_co_u32_e32 v1, vcc, s0, v13
	v_addc_co_u32_e32 v2, vcc, 0, v2, vcc
	s_and_b64 vcc, exec, s[24:25]
	s_waitcnt lgkmcnt(0)
	s_cbranch_vccz .LBB21_93
; %bb.92:
	s_barrier
	ds_read_b32 v13, v11
	ds_read_b32 v20, v12 offset:512
	ds_read_b32 v21, v14 offset:1024
	;; [unrolled: 1-line block ×7, first 2 shown]
	s_waitcnt lgkmcnt(7)
	global_store_dword v[1:2], v13, off
	s_waitcnt lgkmcnt(6)
	global_store_dword v[1:2], v20, off offset:512
	s_waitcnt lgkmcnt(5)
	global_store_dword v[1:2], v21, off offset:1024
	;; [unrolled: 2-line block ×6, first 2 shown]
	s_mov_b64 s[0:1], -1
	s_cbranch_execz .LBB21_94
	s_branch .LBB21_103
.LBB21_93:
	s_mov_b64 s[0:1], 0
                                        ; implicit-def: $vgpr7
.LBB21_94:
	s_waitcnt vmcnt(0) lgkmcnt(0)
	s_barrier
	ds_read_b32 v21, v12 offset:512
	ds_read_b32 v20, v14 offset:1024
	;; [unrolled: 1-line block ×7, first 2 shown]
	s_sub_i32 s2, s20, s22
	v_cmp_gt_u32_e32 vcc, s2, v0
	s_and_saveexec_b64 s[0:1], vcc
	s_cbranch_execnz .LBB21_106
; %bb.95:
	s_or_b64 exec, exec, s[0:1]
	v_cmp_gt_u32_e32 vcc, s2, v10
	s_and_saveexec_b64 s[0:1], vcc
	s_cbranch_execnz .LBB21_107
.LBB21_96:
	s_or_b64 exec, exec, s[0:1]
	v_cmp_gt_u32_e32 vcc, s2, v9
	s_and_saveexec_b64 s[0:1], vcc
	s_cbranch_execnz .LBB21_108
.LBB21_97:
	s_or_b64 exec, exec, s[0:1]
	v_cmp_gt_u32_e32 vcc, s2, v8
	s_and_saveexec_b64 s[0:1], vcc
	s_cbranch_execnz .LBB21_109
.LBB21_98:
	s_or_b64 exec, exec, s[0:1]
	v_cmp_gt_u32_e32 vcc, s2, v6
	s_and_saveexec_b64 s[0:1], vcc
	s_cbranch_execnz .LBB21_110
.LBB21_99:
	s_or_b64 exec, exec, s[0:1]
	v_cmp_gt_u32_e32 vcc, s2, v5
	s_and_saveexec_b64 s[0:1], vcc
	s_cbranch_execnz .LBB21_111
.LBB21_100:
	s_or_b64 exec, exec, s[0:1]
	v_cmp_gt_u32_e32 vcc, s2, v4
	s_and_saveexec_b64 s[0:1], vcc
	s_cbranch_execz .LBB21_102
.LBB21_101:
	s_waitcnt lgkmcnt(1)
	global_store_dword v[1:2], v12, off offset:3072
.LBB21_102:
	s_or_b64 exec, exec, s[0:1]
	v_cmp_gt_u32_e64 s[0:1], s2, v3
.LBB21_103:
	s_and_saveexec_b64 s[2:3], s[0:1]
	s_cbranch_execz .LBB21_105
; %bb.104:
	s_waitcnt lgkmcnt(0)
	global_store_dword v[1:2], v7, off offset:3584
.LBB21_105:
	s_endpgm
.LBB21_106:
	ds_read_b32 v0, v11
	s_waitcnt lgkmcnt(0)
	global_store_dword v[1:2], v0, off
	s_or_b64 exec, exec, s[0:1]
	v_cmp_gt_u32_e32 vcc, s2, v10
	s_and_saveexec_b64 s[0:1], vcc
	s_cbranch_execz .LBB21_96
.LBB21_107:
	s_waitcnt lgkmcnt(6)
	global_store_dword v[1:2], v21, off offset:512
	s_or_b64 exec, exec, s[0:1]
	v_cmp_gt_u32_e32 vcc, s2, v9
	s_and_saveexec_b64 s[0:1], vcc
	s_cbranch_execz .LBB21_97
.LBB21_108:
	s_waitcnt lgkmcnt(5)
	global_store_dword v[1:2], v20, off offset:1024
	s_or_b64 exec, exec, s[0:1]
	v_cmp_gt_u32_e32 vcc, s2, v8
	s_and_saveexec_b64 s[0:1], vcc
	s_cbranch_execz .LBB21_98
.LBB21_109:
	s_waitcnt lgkmcnt(4)
	global_store_dword v[1:2], v15, off offset:1536
	s_or_b64 exec, exec, s[0:1]
	v_cmp_gt_u32_e32 vcc, s2, v6
	s_and_saveexec_b64 s[0:1], vcc
	s_cbranch_execz .LBB21_99
.LBB21_110:
	s_waitcnt lgkmcnt(3)
	global_store_dword v[1:2], v14, off offset:2048
	s_or_b64 exec, exec, s[0:1]
	v_cmp_gt_u32_e32 vcc, s2, v5
	s_and_saveexec_b64 s[0:1], vcc
	s_cbranch_execz .LBB21_100
.LBB21_111:
	s_waitcnt lgkmcnt(2)
	global_store_dword v[1:2], v13, off offset:2560
	s_or_b64 exec, exec, s[0:1]
	v_cmp_gt_u32_e32 vcc, s2, v4
	s_and_saveexec_b64 s[0:1], vcc
	s_cbranch_execnz .LBB21_101
	s_branch .LBB21_102
	.section	.rodata,"a",@progbits
	.p2align	6, 0x0
	.amdhsa_kernel _ZN7rocprim17ROCPRIM_304000_NS6detail35device_block_merge_mergepath_kernelINS1_37wrapped_merge_sort_block_merge_configINS0_14default_configEiN2at4cuda3cub6detail10OpaqueTypeILi2EEEEEPiSC_PSA_SD_jNS1_19radix_merge_compareILb0ELb1EiNS0_19identity_decomposerEEEEEvT0_T1_T2_T3_T4_SL_jT5_PKSL_NS1_7vsmem_tE
		.amdhsa_group_segment_fixed_size 4224
		.amdhsa_private_segment_fixed_size 0
		.amdhsa_kernarg_size 320
		.amdhsa_user_sgpr_count 6
		.amdhsa_user_sgpr_private_segment_buffer 1
		.amdhsa_user_sgpr_dispatch_ptr 0
		.amdhsa_user_sgpr_queue_ptr 0
		.amdhsa_user_sgpr_kernarg_segment_ptr 1
		.amdhsa_user_sgpr_dispatch_id 0
		.amdhsa_user_sgpr_flat_scratch_init 0
		.amdhsa_user_sgpr_private_segment_size 0
		.amdhsa_uses_dynamic_stack 0
		.amdhsa_system_sgpr_private_segment_wavefront_offset 0
		.amdhsa_system_sgpr_workgroup_id_x 1
		.amdhsa_system_sgpr_workgroup_id_y 1
		.amdhsa_system_sgpr_workgroup_id_z 1
		.amdhsa_system_sgpr_workgroup_info 0
		.amdhsa_system_vgpr_workitem_id 0
		.amdhsa_next_free_vgpr 33
		.amdhsa_next_free_sgpr 61
		.amdhsa_reserve_vcc 1
		.amdhsa_reserve_flat_scratch 0
		.amdhsa_float_round_mode_32 0
		.amdhsa_float_round_mode_16_64 0
		.amdhsa_float_denorm_mode_32 3
		.amdhsa_float_denorm_mode_16_64 3
		.amdhsa_dx10_clamp 1
		.amdhsa_ieee_mode 1
		.amdhsa_fp16_overflow 0
		.amdhsa_exception_fp_ieee_invalid_op 0
		.amdhsa_exception_fp_denorm_src 0
		.amdhsa_exception_fp_ieee_div_zero 0
		.amdhsa_exception_fp_ieee_overflow 0
		.amdhsa_exception_fp_ieee_underflow 0
		.amdhsa_exception_fp_ieee_inexact 0
		.amdhsa_exception_int_div_zero 0
	.end_amdhsa_kernel
	.section	.text._ZN7rocprim17ROCPRIM_304000_NS6detail35device_block_merge_mergepath_kernelINS1_37wrapped_merge_sort_block_merge_configINS0_14default_configEiN2at4cuda3cub6detail10OpaqueTypeILi2EEEEEPiSC_PSA_SD_jNS1_19radix_merge_compareILb0ELb1EiNS0_19identity_decomposerEEEEEvT0_T1_T2_T3_T4_SL_jT5_PKSL_NS1_7vsmem_tE,"axG",@progbits,_ZN7rocprim17ROCPRIM_304000_NS6detail35device_block_merge_mergepath_kernelINS1_37wrapped_merge_sort_block_merge_configINS0_14default_configEiN2at4cuda3cub6detail10OpaqueTypeILi2EEEEEPiSC_PSA_SD_jNS1_19radix_merge_compareILb0ELb1EiNS0_19identity_decomposerEEEEEvT0_T1_T2_T3_T4_SL_jT5_PKSL_NS1_7vsmem_tE,comdat
.Lfunc_end21:
	.size	_ZN7rocprim17ROCPRIM_304000_NS6detail35device_block_merge_mergepath_kernelINS1_37wrapped_merge_sort_block_merge_configINS0_14default_configEiN2at4cuda3cub6detail10OpaqueTypeILi2EEEEEPiSC_PSA_SD_jNS1_19radix_merge_compareILb0ELb1EiNS0_19identity_decomposerEEEEEvT0_T1_T2_T3_T4_SL_jT5_PKSL_NS1_7vsmem_tE, .Lfunc_end21-_ZN7rocprim17ROCPRIM_304000_NS6detail35device_block_merge_mergepath_kernelINS1_37wrapped_merge_sort_block_merge_configINS0_14default_configEiN2at4cuda3cub6detail10OpaqueTypeILi2EEEEEPiSC_PSA_SD_jNS1_19radix_merge_compareILb0ELb1EiNS0_19identity_decomposerEEEEEvT0_T1_T2_T3_T4_SL_jT5_PKSL_NS1_7vsmem_tE
                                        ; -- End function
	.set _ZN7rocprim17ROCPRIM_304000_NS6detail35device_block_merge_mergepath_kernelINS1_37wrapped_merge_sort_block_merge_configINS0_14default_configEiN2at4cuda3cub6detail10OpaqueTypeILi2EEEEEPiSC_PSA_SD_jNS1_19radix_merge_compareILb0ELb1EiNS0_19identity_decomposerEEEEEvT0_T1_T2_T3_T4_SL_jT5_PKSL_NS1_7vsmem_tE.num_vgpr, 33
	.set _ZN7rocprim17ROCPRIM_304000_NS6detail35device_block_merge_mergepath_kernelINS1_37wrapped_merge_sort_block_merge_configINS0_14default_configEiN2at4cuda3cub6detail10OpaqueTypeILi2EEEEEPiSC_PSA_SD_jNS1_19radix_merge_compareILb0ELb1EiNS0_19identity_decomposerEEEEEvT0_T1_T2_T3_T4_SL_jT5_PKSL_NS1_7vsmem_tE.num_agpr, 0
	.set _ZN7rocprim17ROCPRIM_304000_NS6detail35device_block_merge_mergepath_kernelINS1_37wrapped_merge_sort_block_merge_configINS0_14default_configEiN2at4cuda3cub6detail10OpaqueTypeILi2EEEEEPiSC_PSA_SD_jNS1_19radix_merge_compareILb0ELb1EiNS0_19identity_decomposerEEEEEvT0_T1_T2_T3_T4_SL_jT5_PKSL_NS1_7vsmem_tE.numbered_sgpr, 35
	.set _ZN7rocprim17ROCPRIM_304000_NS6detail35device_block_merge_mergepath_kernelINS1_37wrapped_merge_sort_block_merge_configINS0_14default_configEiN2at4cuda3cub6detail10OpaqueTypeILi2EEEEEPiSC_PSA_SD_jNS1_19radix_merge_compareILb0ELb1EiNS0_19identity_decomposerEEEEEvT0_T1_T2_T3_T4_SL_jT5_PKSL_NS1_7vsmem_tE.num_named_barrier, 0
	.set _ZN7rocprim17ROCPRIM_304000_NS6detail35device_block_merge_mergepath_kernelINS1_37wrapped_merge_sort_block_merge_configINS0_14default_configEiN2at4cuda3cub6detail10OpaqueTypeILi2EEEEEPiSC_PSA_SD_jNS1_19radix_merge_compareILb0ELb1EiNS0_19identity_decomposerEEEEEvT0_T1_T2_T3_T4_SL_jT5_PKSL_NS1_7vsmem_tE.private_seg_size, 0
	.set _ZN7rocprim17ROCPRIM_304000_NS6detail35device_block_merge_mergepath_kernelINS1_37wrapped_merge_sort_block_merge_configINS0_14default_configEiN2at4cuda3cub6detail10OpaqueTypeILi2EEEEEPiSC_PSA_SD_jNS1_19radix_merge_compareILb0ELb1EiNS0_19identity_decomposerEEEEEvT0_T1_T2_T3_T4_SL_jT5_PKSL_NS1_7vsmem_tE.uses_vcc, 1
	.set _ZN7rocprim17ROCPRIM_304000_NS6detail35device_block_merge_mergepath_kernelINS1_37wrapped_merge_sort_block_merge_configINS0_14default_configEiN2at4cuda3cub6detail10OpaqueTypeILi2EEEEEPiSC_PSA_SD_jNS1_19radix_merge_compareILb0ELb1EiNS0_19identity_decomposerEEEEEvT0_T1_T2_T3_T4_SL_jT5_PKSL_NS1_7vsmem_tE.uses_flat_scratch, 0
	.set _ZN7rocprim17ROCPRIM_304000_NS6detail35device_block_merge_mergepath_kernelINS1_37wrapped_merge_sort_block_merge_configINS0_14default_configEiN2at4cuda3cub6detail10OpaqueTypeILi2EEEEEPiSC_PSA_SD_jNS1_19radix_merge_compareILb0ELb1EiNS0_19identity_decomposerEEEEEvT0_T1_T2_T3_T4_SL_jT5_PKSL_NS1_7vsmem_tE.has_dyn_sized_stack, 0
	.set _ZN7rocprim17ROCPRIM_304000_NS6detail35device_block_merge_mergepath_kernelINS1_37wrapped_merge_sort_block_merge_configINS0_14default_configEiN2at4cuda3cub6detail10OpaqueTypeILi2EEEEEPiSC_PSA_SD_jNS1_19radix_merge_compareILb0ELb1EiNS0_19identity_decomposerEEEEEvT0_T1_T2_T3_T4_SL_jT5_PKSL_NS1_7vsmem_tE.has_recursion, 0
	.set _ZN7rocprim17ROCPRIM_304000_NS6detail35device_block_merge_mergepath_kernelINS1_37wrapped_merge_sort_block_merge_configINS0_14default_configEiN2at4cuda3cub6detail10OpaqueTypeILi2EEEEEPiSC_PSA_SD_jNS1_19radix_merge_compareILb0ELb1EiNS0_19identity_decomposerEEEEEvT0_T1_T2_T3_T4_SL_jT5_PKSL_NS1_7vsmem_tE.has_indirect_call, 0
	.section	.AMDGPU.csdata,"",@progbits
; Kernel info:
; codeLenInByte = 6068
; TotalNumSgprs: 39
; NumVgprs: 33
; ScratchSize: 0
; MemoryBound: 0
; FloatMode: 240
; IeeeMode: 1
; LDSByteSize: 4224 bytes/workgroup (compile time only)
; SGPRBlocks: 8
; VGPRBlocks: 8
; NumSGPRsForWavesPerEU: 65
; NumVGPRsForWavesPerEU: 33
; Occupancy: 7
; WaveLimiterHint : 1
; COMPUTE_PGM_RSRC2:SCRATCH_EN: 0
; COMPUTE_PGM_RSRC2:USER_SGPR: 6
; COMPUTE_PGM_RSRC2:TRAP_HANDLER: 0
; COMPUTE_PGM_RSRC2:TGID_X_EN: 1
; COMPUTE_PGM_RSRC2:TGID_Y_EN: 1
; COMPUTE_PGM_RSRC2:TGID_Z_EN: 1
; COMPUTE_PGM_RSRC2:TIDIG_COMP_CNT: 0
	.section	.text._ZN7rocprim17ROCPRIM_304000_NS6detail33device_block_merge_oddeven_kernelINS1_37wrapped_merge_sort_block_merge_configINS0_14default_configEiN2at4cuda3cub6detail10OpaqueTypeILi2EEEEEPiSC_PSA_SD_jNS1_19radix_merge_compareILb0ELb1EiNS0_19identity_decomposerEEEEEvT0_T1_T2_T3_T4_SL_T5_,"axG",@progbits,_ZN7rocprim17ROCPRIM_304000_NS6detail33device_block_merge_oddeven_kernelINS1_37wrapped_merge_sort_block_merge_configINS0_14default_configEiN2at4cuda3cub6detail10OpaqueTypeILi2EEEEEPiSC_PSA_SD_jNS1_19radix_merge_compareILb0ELb1EiNS0_19identity_decomposerEEEEEvT0_T1_T2_T3_T4_SL_T5_,comdat
	.protected	_ZN7rocprim17ROCPRIM_304000_NS6detail33device_block_merge_oddeven_kernelINS1_37wrapped_merge_sort_block_merge_configINS0_14default_configEiN2at4cuda3cub6detail10OpaqueTypeILi2EEEEEPiSC_PSA_SD_jNS1_19radix_merge_compareILb0ELb1EiNS0_19identity_decomposerEEEEEvT0_T1_T2_T3_T4_SL_T5_ ; -- Begin function _ZN7rocprim17ROCPRIM_304000_NS6detail33device_block_merge_oddeven_kernelINS1_37wrapped_merge_sort_block_merge_configINS0_14default_configEiN2at4cuda3cub6detail10OpaqueTypeILi2EEEEEPiSC_PSA_SD_jNS1_19radix_merge_compareILb0ELb1EiNS0_19identity_decomposerEEEEEvT0_T1_T2_T3_T4_SL_T5_
	.globl	_ZN7rocprim17ROCPRIM_304000_NS6detail33device_block_merge_oddeven_kernelINS1_37wrapped_merge_sort_block_merge_configINS0_14default_configEiN2at4cuda3cub6detail10OpaqueTypeILi2EEEEEPiSC_PSA_SD_jNS1_19radix_merge_compareILb0ELb1EiNS0_19identity_decomposerEEEEEvT0_T1_T2_T3_T4_SL_T5_
	.p2align	8
	.type	_ZN7rocprim17ROCPRIM_304000_NS6detail33device_block_merge_oddeven_kernelINS1_37wrapped_merge_sort_block_merge_configINS0_14default_configEiN2at4cuda3cub6detail10OpaqueTypeILi2EEEEEPiSC_PSA_SD_jNS1_19radix_merge_compareILb0ELb1EiNS0_19identity_decomposerEEEEEvT0_T1_T2_T3_T4_SL_T5_,@function
_ZN7rocprim17ROCPRIM_304000_NS6detail33device_block_merge_oddeven_kernelINS1_37wrapped_merge_sort_block_merge_configINS0_14default_configEiN2at4cuda3cub6detail10OpaqueTypeILi2EEEEEPiSC_PSA_SD_jNS1_19radix_merge_compareILb0ELb1EiNS0_19identity_decomposerEEEEEvT0_T1_T2_T3_T4_SL_T5_: ; @_ZN7rocprim17ROCPRIM_304000_NS6detail33device_block_merge_oddeven_kernelINS1_37wrapped_merge_sort_block_merge_configINS0_14default_configEiN2at4cuda3cub6detail10OpaqueTypeILi2EEEEEPiSC_PSA_SD_jNS1_19radix_merge_compareILb0ELb1EiNS0_19identity_decomposerEEEEEvT0_T1_T2_T3_T4_SL_T5_
; %bb.0:
	s_load_dwordx4 s[16:19], s[4:5], 0x20
	s_waitcnt lgkmcnt(0)
	s_lshr_b32 s0, s16, 8
	s_cmp_eq_u32 s6, s0
	s_cselect_b64 s[20:21], -1, 0
	s_cmp_lg_u32 s6, s0
	s_cselect_b64 s[0:1], -1, 0
	s_lshl_b32 s22, s6, 8
	s_sub_i32 s2, s16, s22
	v_cmp_gt_u32_e64 s[2:3], s2, v0
	s_or_b64 s[0:1], s[0:1], s[2:3]
	s_and_saveexec_b64 s[8:9], s[0:1]
	s_cbranch_execz .LBB22_24
; %bb.1:
	s_load_dwordx8 s[8:15], s[4:5], 0x0
	s_mov_b32 s23, 0
	s_lshl_b64 s[0:1], s[22:23], 2
	v_lshlrev_b32_e32 v4, 1, v0
	v_lshlrev_b32_e32 v1, 2, v0
	s_waitcnt lgkmcnt(0)
	s_add_u32 s0, s8, s0
	s_addc_u32 s1, s9, s1
	s_lshl_b64 s[4:5], s[22:23], 1
	s_add_u32 s4, s12, s4
	s_addc_u32 s5, s13, s5
	global_load_ushort v2, v4, s[4:5]
	global_load_dword v3, v1, s[0:1]
	s_lshr_b32 s0, s17, 8
	s_sub_i32 s1, 0, s0
	s_and_b32 s1, s6, s1
	s_and_b32 s0, s1, s0
	s_lshl_b32 s13, s1, 8
	s_sub_i32 s6, 0, s17
	s_cmp_eq_u32 s0, 0
	s_cselect_b64 s[0:1], -1, 0
	s_and_b64 s[4:5], s[0:1], exec
	s_cselect_b32 s6, s17, s6
	s_add_i32 s6, s6, s13
	s_mov_b64 s[4:5], -1
	s_cmp_gt_u32 s16, s6
	v_add_u32_e32 v0, s22, v0
	s_cbranch_scc1 .LBB22_9
; %bb.2:
	s_and_b64 vcc, exec, s[20:21]
	s_cbranch_vccz .LBB22_6
; %bb.3:
	v_cmp_gt_u32_e32 vcc, s16, v0
	s_and_saveexec_b64 s[4:5], vcc
	s_cbranch_execz .LBB22_5
; %bb.4:
	v_mov_b32_e32 v1, 0
	v_lshlrev_b64 v[4:5], 1, v[0:1]
	v_mov_b32_e32 v6, s15
	v_add_co_u32_e32 v4, vcc, s14, v4
	v_addc_co_u32_e32 v5, vcc, v6, v5, vcc
	v_lshlrev_b64 v[6:7], 2, v[0:1]
	v_mov_b32_e32 v1, s11
	v_add_co_u32_e32 v6, vcc, s10, v6
	v_addc_co_u32_e32 v7, vcc, v1, v7, vcc
	s_waitcnt vmcnt(0)
	global_store_dword v[6:7], v3, off
	global_store_short v[4:5], v2, off
.LBB22_5:
	s_or_b64 exec, exec, s[4:5]
	s_mov_b64 s[4:5], 0
.LBB22_6:
	s_andn2_b64 vcc, exec, s[4:5]
	s_cbranch_vccnz .LBB22_8
; %bb.7:
	v_mov_b32_e32 v1, 0
	v_lshlrev_b64 v[4:5], 2, v[0:1]
	v_mov_b32_e32 v6, s11
	v_add_co_u32_e32 v4, vcc, s10, v4
	v_addc_co_u32_e32 v5, vcc, v6, v5, vcc
	v_lshlrev_b64 v[6:7], 1, v[0:1]
	v_mov_b32_e32 v1, s15
	v_add_co_u32_e32 v6, vcc, s14, v6
	v_addc_co_u32_e32 v7, vcc, v1, v7, vcc
	s_waitcnt vmcnt(0)
	global_store_dword v[4:5], v3, off
	global_store_short v[6:7], v2, off
.LBB22_8:
	s_mov_b64 s[4:5], 0
.LBB22_9:
	s_andn2_b64 vcc, exec, s[4:5]
	s_cbranch_vccnz .LBB22_24
; %bb.10:
	s_min_u32 s7, s6, s16
	s_add_i32 s4, s7, s17
	s_min_u32 s12, s4, s16
	s_min_u32 s4, s13, s7
	s_add_i32 s13, s13, s7
	v_subrev_u32_e32 v0, s13, v0
	v_add_u32_e32 v4, s4, v0
	s_waitcnt vmcnt(0)
	v_and_b32_e32 v5, s18, v3
	s_mov_b64 s[4:5], -1
	s_and_b64 vcc, exec, s[20:21]
	s_cbranch_vccz .LBB22_18
; %bb.11:
	s_and_saveexec_b64 s[4:5], s[2:3]
	s_cbranch_execz .LBB22_17
; %bb.12:
	s_cmp_ge_u32 s6, s12
	v_mov_b32_e32 v6, s7
	s_cbranch_scc1 .LBB22_16
; %bb.13:
	s_mov_b64 s[2:3], 0
	v_mov_b32_e32 v7, s12
	v_mov_b32_e32 v6, s7
	;; [unrolled: 1-line block ×4, first 2 shown]
.LBB22_14:                              ; =>This Inner Loop Header: Depth=1
	v_add_u32_e32 v0, v6, v7
	v_lshrrev_b32_e32 v0, 1, v0
	v_lshlrev_b64 v[9:10], 2, v[0:1]
	v_add_co_u32_e32 v9, vcc, s8, v9
	v_addc_co_u32_e32 v10, vcc, v8, v10, vcc
	global_load_dword v9, v[9:10], off
	v_add_u32_e32 v10, 1, v0
	s_waitcnt vmcnt(0)
	v_and_b32_e32 v9, s18, v9
	v_cmp_gt_i32_e32 vcc, v5, v9
	v_cndmask_b32_e64 v11, 0, 1, vcc
	v_cmp_le_i32_e32 vcc, v9, v5
	v_cndmask_b32_e64 v9, 0, 1, vcc
	v_cndmask_b32_e64 v9, v9, v11, s[0:1]
	v_and_b32_e32 v9, 1, v9
	v_cmp_eq_u32_e32 vcc, 1, v9
	v_cndmask_b32_e32 v7, v0, v7, vcc
	v_cndmask_b32_e32 v6, v6, v10, vcc
	v_cmp_ge_u32_e32 vcc, v6, v7
	s_or_b64 s[2:3], vcc, s[2:3]
	s_andn2_b64 exec, exec, s[2:3]
	s_cbranch_execnz .LBB22_14
; %bb.15:
	s_or_b64 exec, exec, s[2:3]
.LBB22_16:
	v_add_u32_e32 v0, v6, v4
	v_mov_b32_e32 v1, 0
	v_lshlrev_b64 v[6:7], 2, v[0:1]
	v_mov_b32_e32 v8, s11
	v_add_co_u32_e32 v6, vcc, s10, v6
	v_lshlrev_b64 v[0:1], 1, v[0:1]
	v_addc_co_u32_e32 v7, vcc, v8, v7, vcc
	global_store_dword v[6:7], v3, off
	v_mov_b32_e32 v6, s15
	v_add_co_u32_e32 v0, vcc, s14, v0
	v_addc_co_u32_e32 v1, vcc, v6, v1, vcc
	global_store_short v[0:1], v2, off
.LBB22_17:
	s_or_b64 exec, exec, s[4:5]
	s_mov_b64 s[4:5], 0
.LBB22_18:
	s_andn2_b64 vcc, exec, s[4:5]
	s_cbranch_vccnz .LBB22_24
; %bb.19:
	s_cmp_ge_u32 s6, s12
	v_mov_b32_e32 v6, s7
	s_cbranch_scc1 .LBB22_23
; %bb.20:
	s_mov_b64 s[2:3], 0
	v_mov_b32_e32 v7, s12
	v_mov_b32_e32 v6, s7
	;; [unrolled: 1-line block ×4, first 2 shown]
.LBB22_21:                              ; =>This Inner Loop Header: Depth=1
	v_add_u32_e32 v0, v6, v7
	v_lshrrev_b32_e32 v0, 1, v0
	v_lshlrev_b64 v[9:10], 2, v[0:1]
	v_add_co_u32_e32 v9, vcc, s8, v9
	v_addc_co_u32_e32 v10, vcc, v8, v10, vcc
	global_load_dword v9, v[9:10], off
	v_add_u32_e32 v10, 1, v0
	s_waitcnt vmcnt(0)
	v_and_b32_e32 v9, s18, v9
	v_cmp_gt_i32_e32 vcc, v5, v9
	v_cndmask_b32_e64 v11, 0, 1, vcc
	v_cmp_le_i32_e32 vcc, v9, v5
	v_cndmask_b32_e64 v9, 0, 1, vcc
	v_cndmask_b32_e64 v9, v9, v11, s[0:1]
	v_and_b32_e32 v9, 1, v9
	v_cmp_eq_u32_e32 vcc, 1, v9
	v_cndmask_b32_e32 v7, v0, v7, vcc
	v_cndmask_b32_e32 v6, v6, v10, vcc
	v_cmp_ge_u32_e32 vcc, v6, v7
	s_or_b64 s[2:3], vcc, s[2:3]
	s_andn2_b64 exec, exec, s[2:3]
	s_cbranch_execnz .LBB22_21
; %bb.22:
	s_or_b64 exec, exec, s[2:3]
.LBB22_23:
	v_add_u32_e32 v0, v6, v4
	v_mov_b32_e32 v1, 0
	v_lshlrev_b64 v[4:5], 2, v[0:1]
	v_mov_b32_e32 v6, s11
	v_add_co_u32_e32 v4, vcc, s10, v4
	v_lshlrev_b64 v[0:1], 1, v[0:1]
	v_addc_co_u32_e32 v5, vcc, v6, v5, vcc
	global_store_dword v[4:5], v3, off
	v_mov_b32_e32 v3, s15
	v_add_co_u32_e32 v0, vcc, s14, v0
	v_addc_co_u32_e32 v1, vcc, v3, v1, vcc
	global_store_short v[0:1], v2, off
.LBB22_24:
	s_endpgm
	.section	.rodata,"a",@progbits
	.p2align	6, 0x0
	.amdhsa_kernel _ZN7rocprim17ROCPRIM_304000_NS6detail33device_block_merge_oddeven_kernelINS1_37wrapped_merge_sort_block_merge_configINS0_14default_configEiN2at4cuda3cub6detail10OpaqueTypeILi2EEEEEPiSC_PSA_SD_jNS1_19radix_merge_compareILb0ELb1EiNS0_19identity_decomposerEEEEEvT0_T1_T2_T3_T4_SL_T5_
		.amdhsa_group_segment_fixed_size 0
		.amdhsa_private_segment_fixed_size 0
		.amdhsa_kernarg_size 44
		.amdhsa_user_sgpr_count 6
		.amdhsa_user_sgpr_private_segment_buffer 1
		.amdhsa_user_sgpr_dispatch_ptr 0
		.amdhsa_user_sgpr_queue_ptr 0
		.amdhsa_user_sgpr_kernarg_segment_ptr 1
		.amdhsa_user_sgpr_dispatch_id 0
		.amdhsa_user_sgpr_flat_scratch_init 0
		.amdhsa_user_sgpr_private_segment_size 0
		.amdhsa_uses_dynamic_stack 0
		.amdhsa_system_sgpr_private_segment_wavefront_offset 0
		.amdhsa_system_sgpr_workgroup_id_x 1
		.amdhsa_system_sgpr_workgroup_id_y 0
		.amdhsa_system_sgpr_workgroup_id_z 0
		.amdhsa_system_sgpr_workgroup_info 0
		.amdhsa_system_vgpr_workitem_id 0
		.amdhsa_next_free_vgpr 12
		.amdhsa_next_free_sgpr 24
		.amdhsa_reserve_vcc 1
		.amdhsa_reserve_flat_scratch 0
		.amdhsa_float_round_mode_32 0
		.amdhsa_float_round_mode_16_64 0
		.amdhsa_float_denorm_mode_32 3
		.amdhsa_float_denorm_mode_16_64 3
		.amdhsa_dx10_clamp 1
		.amdhsa_ieee_mode 1
		.amdhsa_fp16_overflow 0
		.amdhsa_exception_fp_ieee_invalid_op 0
		.amdhsa_exception_fp_denorm_src 0
		.amdhsa_exception_fp_ieee_div_zero 0
		.amdhsa_exception_fp_ieee_overflow 0
		.amdhsa_exception_fp_ieee_underflow 0
		.amdhsa_exception_fp_ieee_inexact 0
		.amdhsa_exception_int_div_zero 0
	.end_amdhsa_kernel
	.section	.text._ZN7rocprim17ROCPRIM_304000_NS6detail33device_block_merge_oddeven_kernelINS1_37wrapped_merge_sort_block_merge_configINS0_14default_configEiN2at4cuda3cub6detail10OpaqueTypeILi2EEEEEPiSC_PSA_SD_jNS1_19radix_merge_compareILb0ELb1EiNS0_19identity_decomposerEEEEEvT0_T1_T2_T3_T4_SL_T5_,"axG",@progbits,_ZN7rocprim17ROCPRIM_304000_NS6detail33device_block_merge_oddeven_kernelINS1_37wrapped_merge_sort_block_merge_configINS0_14default_configEiN2at4cuda3cub6detail10OpaqueTypeILi2EEEEEPiSC_PSA_SD_jNS1_19radix_merge_compareILb0ELb1EiNS0_19identity_decomposerEEEEEvT0_T1_T2_T3_T4_SL_T5_,comdat
.Lfunc_end22:
	.size	_ZN7rocprim17ROCPRIM_304000_NS6detail33device_block_merge_oddeven_kernelINS1_37wrapped_merge_sort_block_merge_configINS0_14default_configEiN2at4cuda3cub6detail10OpaqueTypeILi2EEEEEPiSC_PSA_SD_jNS1_19radix_merge_compareILb0ELb1EiNS0_19identity_decomposerEEEEEvT0_T1_T2_T3_T4_SL_T5_, .Lfunc_end22-_ZN7rocprim17ROCPRIM_304000_NS6detail33device_block_merge_oddeven_kernelINS1_37wrapped_merge_sort_block_merge_configINS0_14default_configEiN2at4cuda3cub6detail10OpaqueTypeILi2EEEEEPiSC_PSA_SD_jNS1_19radix_merge_compareILb0ELb1EiNS0_19identity_decomposerEEEEEvT0_T1_T2_T3_T4_SL_T5_
                                        ; -- End function
	.set _ZN7rocprim17ROCPRIM_304000_NS6detail33device_block_merge_oddeven_kernelINS1_37wrapped_merge_sort_block_merge_configINS0_14default_configEiN2at4cuda3cub6detail10OpaqueTypeILi2EEEEEPiSC_PSA_SD_jNS1_19radix_merge_compareILb0ELb1EiNS0_19identity_decomposerEEEEEvT0_T1_T2_T3_T4_SL_T5_.num_vgpr, 12
	.set _ZN7rocprim17ROCPRIM_304000_NS6detail33device_block_merge_oddeven_kernelINS1_37wrapped_merge_sort_block_merge_configINS0_14default_configEiN2at4cuda3cub6detail10OpaqueTypeILi2EEEEEPiSC_PSA_SD_jNS1_19radix_merge_compareILb0ELb1EiNS0_19identity_decomposerEEEEEvT0_T1_T2_T3_T4_SL_T5_.num_agpr, 0
	.set _ZN7rocprim17ROCPRIM_304000_NS6detail33device_block_merge_oddeven_kernelINS1_37wrapped_merge_sort_block_merge_configINS0_14default_configEiN2at4cuda3cub6detail10OpaqueTypeILi2EEEEEPiSC_PSA_SD_jNS1_19radix_merge_compareILb0ELb1EiNS0_19identity_decomposerEEEEEvT0_T1_T2_T3_T4_SL_T5_.numbered_sgpr, 24
	.set _ZN7rocprim17ROCPRIM_304000_NS6detail33device_block_merge_oddeven_kernelINS1_37wrapped_merge_sort_block_merge_configINS0_14default_configEiN2at4cuda3cub6detail10OpaqueTypeILi2EEEEEPiSC_PSA_SD_jNS1_19radix_merge_compareILb0ELb1EiNS0_19identity_decomposerEEEEEvT0_T1_T2_T3_T4_SL_T5_.num_named_barrier, 0
	.set _ZN7rocprim17ROCPRIM_304000_NS6detail33device_block_merge_oddeven_kernelINS1_37wrapped_merge_sort_block_merge_configINS0_14default_configEiN2at4cuda3cub6detail10OpaqueTypeILi2EEEEEPiSC_PSA_SD_jNS1_19radix_merge_compareILb0ELb1EiNS0_19identity_decomposerEEEEEvT0_T1_T2_T3_T4_SL_T5_.private_seg_size, 0
	.set _ZN7rocprim17ROCPRIM_304000_NS6detail33device_block_merge_oddeven_kernelINS1_37wrapped_merge_sort_block_merge_configINS0_14default_configEiN2at4cuda3cub6detail10OpaqueTypeILi2EEEEEPiSC_PSA_SD_jNS1_19radix_merge_compareILb0ELb1EiNS0_19identity_decomposerEEEEEvT0_T1_T2_T3_T4_SL_T5_.uses_vcc, 1
	.set _ZN7rocprim17ROCPRIM_304000_NS6detail33device_block_merge_oddeven_kernelINS1_37wrapped_merge_sort_block_merge_configINS0_14default_configEiN2at4cuda3cub6detail10OpaqueTypeILi2EEEEEPiSC_PSA_SD_jNS1_19radix_merge_compareILb0ELb1EiNS0_19identity_decomposerEEEEEvT0_T1_T2_T3_T4_SL_T5_.uses_flat_scratch, 0
	.set _ZN7rocprim17ROCPRIM_304000_NS6detail33device_block_merge_oddeven_kernelINS1_37wrapped_merge_sort_block_merge_configINS0_14default_configEiN2at4cuda3cub6detail10OpaqueTypeILi2EEEEEPiSC_PSA_SD_jNS1_19radix_merge_compareILb0ELb1EiNS0_19identity_decomposerEEEEEvT0_T1_T2_T3_T4_SL_T5_.has_dyn_sized_stack, 0
	.set _ZN7rocprim17ROCPRIM_304000_NS6detail33device_block_merge_oddeven_kernelINS1_37wrapped_merge_sort_block_merge_configINS0_14default_configEiN2at4cuda3cub6detail10OpaqueTypeILi2EEEEEPiSC_PSA_SD_jNS1_19radix_merge_compareILb0ELb1EiNS0_19identity_decomposerEEEEEvT0_T1_T2_T3_T4_SL_T5_.has_recursion, 0
	.set _ZN7rocprim17ROCPRIM_304000_NS6detail33device_block_merge_oddeven_kernelINS1_37wrapped_merge_sort_block_merge_configINS0_14default_configEiN2at4cuda3cub6detail10OpaqueTypeILi2EEEEEPiSC_PSA_SD_jNS1_19radix_merge_compareILb0ELb1EiNS0_19identity_decomposerEEEEEvT0_T1_T2_T3_T4_SL_T5_.has_indirect_call, 0
	.section	.AMDGPU.csdata,"",@progbits
; Kernel info:
; codeLenInByte = 852
; TotalNumSgprs: 28
; NumVgprs: 12
; ScratchSize: 0
; MemoryBound: 0
; FloatMode: 240
; IeeeMode: 1
; LDSByteSize: 0 bytes/workgroup (compile time only)
; SGPRBlocks: 3
; VGPRBlocks: 2
; NumSGPRsForWavesPerEU: 28
; NumVGPRsForWavesPerEU: 12
; Occupancy: 10
; WaveLimiterHint : 0
; COMPUTE_PGM_RSRC2:SCRATCH_EN: 0
; COMPUTE_PGM_RSRC2:USER_SGPR: 6
; COMPUTE_PGM_RSRC2:TRAP_HANDLER: 0
; COMPUTE_PGM_RSRC2:TGID_X_EN: 1
; COMPUTE_PGM_RSRC2:TGID_Y_EN: 0
; COMPUTE_PGM_RSRC2:TGID_Z_EN: 0
; COMPUTE_PGM_RSRC2:TIDIG_COMP_CNT: 0
	.section	.text._ZN7rocprim17ROCPRIM_304000_NS6detail26onesweep_histograms_kernelINS1_34wrapped_radix_sort_onesweep_configINS0_14default_configEiN2at4cuda3cub6detail10OpaqueTypeILi2EEEEELb0EPKimNS0_19identity_decomposerEEEvT1_PT2_SG_SG_T3_jj,"axG",@progbits,_ZN7rocprim17ROCPRIM_304000_NS6detail26onesweep_histograms_kernelINS1_34wrapped_radix_sort_onesweep_configINS0_14default_configEiN2at4cuda3cub6detail10OpaqueTypeILi2EEEEELb0EPKimNS0_19identity_decomposerEEEvT1_PT2_SG_SG_T3_jj,comdat
	.protected	_ZN7rocprim17ROCPRIM_304000_NS6detail26onesweep_histograms_kernelINS1_34wrapped_radix_sort_onesweep_configINS0_14default_configEiN2at4cuda3cub6detail10OpaqueTypeILi2EEEEELb0EPKimNS0_19identity_decomposerEEEvT1_PT2_SG_SG_T3_jj ; -- Begin function _ZN7rocprim17ROCPRIM_304000_NS6detail26onesweep_histograms_kernelINS1_34wrapped_radix_sort_onesweep_configINS0_14default_configEiN2at4cuda3cub6detail10OpaqueTypeILi2EEEEELb0EPKimNS0_19identity_decomposerEEEvT1_PT2_SG_SG_T3_jj
	.globl	_ZN7rocprim17ROCPRIM_304000_NS6detail26onesweep_histograms_kernelINS1_34wrapped_radix_sort_onesweep_configINS0_14default_configEiN2at4cuda3cub6detail10OpaqueTypeILi2EEEEELb0EPKimNS0_19identity_decomposerEEEvT1_PT2_SG_SG_T3_jj
	.p2align	8
	.type	_ZN7rocprim17ROCPRIM_304000_NS6detail26onesweep_histograms_kernelINS1_34wrapped_radix_sort_onesweep_configINS0_14default_configEiN2at4cuda3cub6detail10OpaqueTypeILi2EEEEELb0EPKimNS0_19identity_decomposerEEEvT1_PT2_SG_SG_T3_jj,@function
_ZN7rocprim17ROCPRIM_304000_NS6detail26onesweep_histograms_kernelINS1_34wrapped_radix_sort_onesweep_configINS0_14default_configEiN2at4cuda3cub6detail10OpaqueTypeILi2EEEEELb0EPKimNS0_19identity_decomposerEEEvT1_PT2_SG_SG_T3_jj: ; @_ZN7rocprim17ROCPRIM_304000_NS6detail26onesweep_histograms_kernelINS1_34wrapped_radix_sort_onesweep_configINS0_14default_configEiN2at4cuda3cub6detail10OpaqueTypeILi2EEEEELb0EPKimNS0_19identity_decomposerEEEvT1_PT2_SG_SG_T3_jj
; %bb.0:
	s_load_dwordx8 s[36:43], s[4:5], 0x0
	s_load_dwordx2 s[44:45], s[4:5], 0x24
	v_mov_b32_e32 v1, s6
	v_mov_b32_e32 v2, 0
	s_mul_hi_u32 s0, s6, 0x4800
	s_waitcnt lgkmcnt(0)
	v_cmp_le_u64_e32 vcc, s[42:43], v[1:2]
	s_mulk_i32 s6, 0x4800
	s_add_u32 s46, s36, s6
	s_addc_u32 s47, s37, s0
	s_mov_b64 s[0:1], -1
	v_lshlrev_b32_e32 v3, 2, v0
	s_cbranch_vccz .LBB23_118
; %bb.1:
	s_mul_i32 s33, s42, 0xffffee00
	v_lshlrev_b32_e32 v22, 2, v0
	s_add_i32 s33, s33, s40
	v_mov_b32_e32 v2, s47
	v_add_co_u32_e32 v1, vcc, s46, v22
	v_addc_co_u32_e32 v2, vcc, 0, v2, vcc
	v_cmp_gt_u32_e64 s[36:37], s33, v0
                                        ; implicit-def: $vgpr21
	s_and_saveexec_b64 s[0:1], s[36:37]
	s_cbranch_execz .LBB23_3
; %bb.2:
	global_load_dword v4, v[1:2], off
	s_waitcnt vmcnt(0)
	v_xor_b32_e32 v21, 0x80000000, v4
.LBB23_3:
	s_or_b64 exec, exec, s[0:1]
	v_or_b32_e32 v4, 0x100, v0
	v_cmp_gt_u32_e64 s[34:35], s33, v4
                                        ; implicit-def: $vgpr20
	s_and_saveexec_b64 s[0:1], s[34:35]
	s_cbranch_execz .LBB23_5
; %bb.4:
	global_load_dword v4, v[1:2], off offset:1024
	s_waitcnt vmcnt(0)
	v_xor_b32_e32 v20, 0x80000000, v4
.LBB23_5:
	s_or_b64 exec, exec, s[0:1]
	v_or_b32_e32 v4, 0x200, v0
	v_cmp_gt_u32_e64 s[30:31], s33, v4
                                        ; implicit-def: $vgpr19
	s_and_saveexec_b64 s[0:1], s[30:31]
	s_cbranch_execz .LBB23_7
; %bb.6:
	global_load_dword v4, v[1:2], off offset:2048
	s_waitcnt vmcnt(0)
	v_xor_b32_e32 v19, 0x80000000, v4
.LBB23_7:
	s_or_b64 exec, exec, s[0:1]
	v_or_b32_e32 v4, 0x300, v0
	v_cmp_gt_u32_e64 s[28:29], s33, v4
                                        ; implicit-def: $vgpr18
	s_and_saveexec_b64 s[0:1], s[28:29]
	s_cbranch_execz .LBB23_9
; %bb.8:
	global_load_dword v4, v[1:2], off offset:3072
	s_waitcnt vmcnt(0)
	v_xor_b32_e32 v18, 0x80000000, v4
.LBB23_9:
	s_or_b64 exec, exec, s[0:1]
	v_or_b32_e32 v4, 0x400, v0
	v_cmp_gt_u32_e64 s[26:27], s33, v4
                                        ; implicit-def: $vgpr17
	s_and_saveexec_b64 s[0:1], s[26:27]
	s_cbranch_execz .LBB23_11
; %bb.10:
	v_add_co_u32_e32 v4, vcc, 0x1000, v1
	v_addc_co_u32_e32 v5, vcc, 0, v2, vcc
	global_load_dword v4, v[4:5], off
	s_waitcnt vmcnt(0)
	v_xor_b32_e32 v17, 0x80000000, v4
.LBB23_11:
	s_or_b64 exec, exec, s[0:1]
	v_or_b32_e32 v4, 0x500, v0
	v_cmp_gt_u32_e64 s[24:25], s33, v4
                                        ; implicit-def: $vgpr16
	s_and_saveexec_b64 s[0:1], s[24:25]
	s_cbranch_execz .LBB23_13
; %bb.12:
	v_add_co_u32_e32 v4, vcc, 0x1000, v1
	v_addc_co_u32_e32 v5, vcc, 0, v2, vcc
	global_load_dword v4, v[4:5], off offset:1024
	s_waitcnt vmcnt(0)
	v_xor_b32_e32 v16, 0x80000000, v4
.LBB23_13:
	s_or_b64 exec, exec, s[0:1]
	v_or_b32_e32 v4, 0x600, v0
	v_cmp_gt_u32_e64 s[22:23], s33, v4
                                        ; implicit-def: $vgpr15
	s_and_saveexec_b64 s[0:1], s[22:23]
	s_cbranch_execz .LBB23_15
; %bb.14:
	v_add_co_u32_e32 v4, vcc, 0x1000, v1
	v_addc_co_u32_e32 v5, vcc, 0, v2, vcc
	global_load_dword v4, v[4:5], off offset:2048
	s_waitcnt vmcnt(0)
	v_xor_b32_e32 v15, 0x80000000, v4
.LBB23_15:
	s_or_b64 exec, exec, s[0:1]
	v_or_b32_e32 v4, 0x700, v0
	v_cmp_gt_u32_e64 s[20:21], s33, v4
                                        ; implicit-def: $vgpr14
	s_and_saveexec_b64 s[0:1], s[20:21]
	s_cbranch_execz .LBB23_17
; %bb.16:
	v_add_co_u32_e32 v4, vcc, 0x1000, v1
	v_addc_co_u32_e32 v5, vcc, 0, v2, vcc
	global_load_dword v4, v[4:5], off offset:3072
	s_waitcnt vmcnt(0)
	v_xor_b32_e32 v14, 0x80000000, v4
.LBB23_17:
	s_or_b64 exec, exec, s[0:1]
	v_or_b32_e32 v4, 0x800, v0
	v_cmp_gt_u32_e64 s[18:19], s33, v4
                                        ; implicit-def: $vgpr13
	s_and_saveexec_b64 s[0:1], s[18:19]
	s_cbranch_execz .LBB23_19
; %bb.18:
	v_add_co_u32_e32 v4, vcc, 0x2000, v1
	v_addc_co_u32_e32 v5, vcc, 0, v2, vcc
	global_load_dword v4, v[4:5], off
	s_waitcnt vmcnt(0)
	v_xor_b32_e32 v13, 0x80000000, v4
.LBB23_19:
	s_or_b64 exec, exec, s[0:1]
	v_or_b32_e32 v4, 0x900, v0
	v_cmp_gt_u32_e64 s[16:17], s33, v4
                                        ; implicit-def: $vgpr12
	s_and_saveexec_b64 s[0:1], s[16:17]
	s_cbranch_execz .LBB23_21
; %bb.20:
	v_add_co_u32_e32 v4, vcc, 0x2000, v1
	v_addc_co_u32_e32 v5, vcc, 0, v2, vcc
	global_load_dword v4, v[4:5], off offset:1024
	s_waitcnt vmcnt(0)
	v_xor_b32_e32 v12, 0x80000000, v4
.LBB23_21:
	s_or_b64 exec, exec, s[0:1]
	v_or_b32_e32 v4, 0xa00, v0
	v_cmp_gt_u32_e64 s[14:15], s33, v4
                                        ; implicit-def: $vgpr11
	s_and_saveexec_b64 s[0:1], s[14:15]
	s_cbranch_execz .LBB23_23
; %bb.22:
	v_add_co_u32_e32 v4, vcc, 0x2000, v1
	v_addc_co_u32_e32 v5, vcc, 0, v2, vcc
	global_load_dword v4, v[4:5], off offset:2048
	s_waitcnt vmcnt(0)
	v_xor_b32_e32 v11, 0x80000000, v4
.LBB23_23:
	s_or_b64 exec, exec, s[0:1]
	v_or_b32_e32 v4, 0xb00, v0
	v_cmp_gt_u32_e64 s[12:13], s33, v4
                                        ; implicit-def: $vgpr10
	s_and_saveexec_b64 s[0:1], s[12:13]
	s_cbranch_execz .LBB23_25
; %bb.24:
	v_add_co_u32_e32 v4, vcc, 0x2000, v1
	v_addc_co_u32_e32 v5, vcc, 0, v2, vcc
	global_load_dword v4, v[4:5], off offset:3072
	s_waitcnt vmcnt(0)
	v_xor_b32_e32 v10, 0x80000000, v4
.LBB23_25:
	s_or_b64 exec, exec, s[0:1]
	v_or_b32_e32 v4, 0xc00, v0
	v_cmp_gt_u32_e64 s[10:11], s33, v4
                                        ; implicit-def: $vgpr9
	s_and_saveexec_b64 s[0:1], s[10:11]
	s_cbranch_execz .LBB23_27
; %bb.26:
	v_add_co_u32_e32 v4, vcc, 0x3000, v1
	v_addc_co_u32_e32 v5, vcc, 0, v2, vcc
	global_load_dword v4, v[4:5], off
	s_waitcnt vmcnt(0)
	v_xor_b32_e32 v9, 0x80000000, v4
.LBB23_27:
	s_or_b64 exec, exec, s[0:1]
	v_or_b32_e32 v4, 0xd00, v0
	v_cmp_gt_u32_e64 s[8:9], s33, v4
                                        ; implicit-def: $vgpr8
	s_and_saveexec_b64 s[0:1], s[8:9]
	s_cbranch_execz .LBB23_29
; %bb.28:
	v_add_co_u32_e32 v4, vcc, 0x3000, v1
	v_addc_co_u32_e32 v5, vcc, 0, v2, vcc
	global_load_dword v4, v[4:5], off offset:1024
	s_waitcnt vmcnt(0)
	v_xor_b32_e32 v8, 0x80000000, v4
.LBB23_29:
	s_or_b64 exec, exec, s[0:1]
	v_or_b32_e32 v4, 0xe00, v0
	v_cmp_gt_u32_e64 s[6:7], s33, v4
                                        ; implicit-def: $vgpr7
	s_and_saveexec_b64 s[0:1], s[6:7]
	s_cbranch_execz .LBB23_31
; %bb.30:
	v_add_co_u32_e32 v4, vcc, 0x3000, v1
	v_addc_co_u32_e32 v5, vcc, 0, v2, vcc
	global_load_dword v4, v[4:5], off offset:2048
	s_waitcnt vmcnt(0)
	v_xor_b32_e32 v7, 0x80000000, v4
.LBB23_31:
	s_or_b64 exec, exec, s[0:1]
	v_or_b32_e32 v4, 0xf00, v0
	v_cmp_gt_u32_e64 s[4:5], s33, v4
                                        ; implicit-def: $vgpr6
	s_and_saveexec_b64 s[0:1], s[4:5]
	s_cbranch_execz .LBB23_33
; %bb.32:
	v_add_co_u32_e32 v4, vcc, 0x3000, v1
	v_addc_co_u32_e32 v5, vcc, 0, v2, vcc
	global_load_dword v4, v[4:5], off offset:3072
	s_waitcnt vmcnt(0)
	v_xor_b32_e32 v6, 0x80000000, v4
.LBB23_33:
	s_or_b64 exec, exec, s[0:1]
	v_or_b32_e32 v4, 0x1000, v0
	v_cmp_gt_u32_e64 s[2:3], s33, v4
                                        ; implicit-def: $vgpr5
	s_and_saveexec_b64 s[0:1], s[2:3]
	s_cbranch_execz .LBB23_35
; %bb.34:
	v_add_co_u32_e32 v4, vcc, 0x4000, v1
	v_addc_co_u32_e32 v5, vcc, 0, v2, vcc
	global_load_dword v4, v[4:5], off
	s_waitcnt vmcnt(0)
	v_xor_b32_e32 v5, 0x80000000, v4
.LBB23_35:
	s_or_b64 exec, exec, s[0:1]
	v_or_b32_e32 v4, 0x1100, v0
	v_cmp_gt_u32_e64 s[0:1], s33, v4
                                        ; implicit-def: $vgpr4
	s_and_saveexec_b64 s[40:41], s[0:1]
	s_cbranch_execz .LBB23_37
; %bb.36:
	v_add_co_u32_e32 v1, vcc, 0x4000, v1
	v_addc_co_u32_e32 v2, vcc, 0, v2, vcc
	global_load_dword v1, v[1:2], off offset:1024
	s_waitcnt vmcnt(0)
	v_xor_b32_e32 v4, 0x80000000, v1
.LBB23_37:
	s_or_b64 exec, exec, s[40:41]
	v_or_b32_e32 v1, 0xffffff00, v0
	s_mov_b64 s[40:41], 0
	v_mov_b32_e32 v2, 0
	s_movk_i32 s33, 0xeff
.LBB23_38:                              ; =>This Inner Loop Header: Depth=1
	v_add_u32_e32 v1, 0x100, v1
	v_cmp_lt_u32_e32 vcc, s33, v1
	ds_write_b32 v22, v2
	s_or_b64 s[40:41], vcc, s[40:41]
	v_add_u32_e32 v22, 0x400, v22
	s_andn2_b64 exec, exec, s[40:41]
	s_cbranch_execnz .LBB23_38
; %bb.39:
	s_or_b64 exec, exec, s[40:41]
	s_cmp_gt_u32 s45, s44
	s_cselect_b64 s[40:41], -1, 0
	s_cmp_le_u32 s45, s44
	s_waitcnt lgkmcnt(0)
	s_barrier
	s_cbranch_scc1 .LBB23_112
; %bb.40:
	v_and_b32_e32 v1, 3, v0
	v_lshlrev_b32_e32 v1, 2, v1
	s_sub_i32 s33, s45, s44
	v_mov_b32_e32 v2, 1
	s_mov_b32 s48, s33
	v_mov_b32_e32 v22, v1
	s_mov_b32 s49, s44
	s_branch .LBB23_42
.LBB23_41:                              ;   in Loop: Header=BB23_42 Depth=1
	s_or_b64 exec, exec, s[42:43]
	s_add_i32 s49, s49, 8
	s_add_i32 s48, s48, -8
	s_cmp_lt_u32 s49, s45
	v_add_u32_e32 v22, 0x1000, v22
	s_cbranch_scc0 .LBB23_44
.LBB23_42:                              ; =>This Inner Loop Header: Depth=1
	s_and_saveexec_b64 s[42:43], s[36:37]
	s_cbranch_execz .LBB23_41
; %bb.43:                               ;   in Loop: Header=BB23_42 Depth=1
	s_min_u32 s50, s48, 8
	v_lshrrev_b32_e32 v23, s49, v21
	v_bfe_u32 v23, v23, 0, s50
	v_lshl_add_u32 v23, v23, 4, v22
	ds_add_u32 v23, v2
	s_branch .LBB23_41
.LBB23_44:
	v_mov_b32_e32 v2, 1
	s_mov_b32 s42, s33
	v_mov_b32_e32 v21, v1
	s_mov_b32 s43, s44
	s_branch .LBB23_46
.LBB23_45:                              ;   in Loop: Header=BB23_46 Depth=1
	s_or_b64 exec, exec, s[36:37]
	s_add_i32 s43, s43, 8
	s_add_i32 s42, s42, -8
	s_cmp_lt_u32 s43, s45
	v_add_u32_e32 v21, 0x1000, v21
	s_cbranch_scc0 .LBB23_48
.LBB23_46:                              ; =>This Inner Loop Header: Depth=1
	s_and_saveexec_b64 s[36:37], s[34:35]
	s_cbranch_execz .LBB23_45
; %bb.47:                               ;   in Loop: Header=BB23_46 Depth=1
	s_min_u32 s48, s42, 8
	v_lshrrev_b32_e32 v22, s43, v20
	v_bfe_u32 v22, v22, 0, s48
	v_lshl_add_u32 v22, v22, 4, v21
	ds_add_u32 v22, v2
	s_branch .LBB23_45
.LBB23_48:
	;; [unrolled: 23-line block ×15, first 2 shown]
	v_mov_b32_e32 v2, 1
	s_mov_b32 s8, s33
	v_mov_b32_e32 v7, v1
	s_mov_b32 s9, s44
	s_branch .LBB23_102
.LBB23_101:                             ;   in Loop: Header=BB23_102 Depth=1
	s_or_b64 exec, exec, s[6:7]
	s_add_i32 s9, s9, 8
	s_add_i32 s8, s8, -8
	s_cmp_lt_u32 s9, s45
	v_add_u32_e32 v7, 0x1000, v7
	s_cbranch_scc0 .LBB23_104
.LBB23_102:                             ; =>This Inner Loop Header: Depth=1
	s_and_saveexec_b64 s[6:7], s[4:5]
	s_cbranch_execz .LBB23_101
; %bb.103:                              ;   in Loop: Header=BB23_102 Depth=1
	s_min_u32 s10, s8, 8
	v_lshrrev_b32_e32 v8, s9, v6
	v_bfe_u32 v8, v8, 0, s10
	v_lshl_add_u32 v8, v8, 4, v7
	ds_add_u32 v8, v2
	s_branch .LBB23_101
.LBB23_104:
	v_mov_b32_e32 v2, 1
	s_mov_b32 s6, s33
	v_mov_b32_e32 v6, v1
	s_mov_b32 s7, s44
	s_branch .LBB23_106
.LBB23_105:                             ;   in Loop: Header=BB23_106 Depth=1
	s_or_b64 exec, exec, s[4:5]
	s_add_i32 s7, s7, 8
	s_add_i32 s6, s6, -8
	s_cmp_lt_u32 s7, s45
	v_add_u32_e32 v6, 0x1000, v6
	s_cbranch_scc0 .LBB23_108
.LBB23_106:                             ; =>This Inner Loop Header: Depth=1
	s_and_saveexec_b64 s[4:5], s[2:3]
	s_cbranch_execz .LBB23_105
; %bb.107:                              ;   in Loop: Header=BB23_106 Depth=1
	s_min_u32 s8, s6, 8
	v_lshrrev_b32_e32 v7, s7, v5
	v_bfe_u32 v7, v7, 0, s8
	v_lshl_add_u32 v7, v7, 4, v6
	ds_add_u32 v7, v2
	s_branch .LBB23_105
.LBB23_108:
	v_mov_b32_e32 v2, 1
	s_mov_b32 s4, s44
	s_branch .LBB23_110
.LBB23_109:                             ;   in Loop: Header=BB23_110 Depth=1
	s_or_b64 exec, exec, s[2:3]
	s_add_i32 s4, s4, 8
	s_add_i32 s33, s33, -8
	s_cmp_lt_u32 s4, s45
	v_add_u32_e32 v1, 0x1000, v1
	s_cbranch_scc0 .LBB23_112
.LBB23_110:                             ; =>This Inner Loop Header: Depth=1
	s_and_saveexec_b64 s[2:3], s[0:1]
	s_cbranch_execz .LBB23_109
; %bb.111:                              ;   in Loop: Header=BB23_110 Depth=1
	s_min_u32 s5, s33, 8
	v_lshrrev_b32_e32 v5, s4, v4
	v_bfe_u32 v5, v5, 0, s5
	v_lshl_add_u32 v5, v5, 4, v1
	ds_add_u32 v5, v2
	s_branch .LBB23_109
.LBB23_112:
	s_and_b64 vcc, exec, s[40:41]
	s_waitcnt lgkmcnt(0)
	s_barrier
	s_cbranch_vccz .LBB23_117
; %bb.113:
	s_movk_i32 s0, 0x100
	v_cmp_gt_u32_e32 vcc, s0, v0
	v_lshlrev_b32_e32 v4, 4, v0
	v_mov_b32_e32 v2, 0
	v_mov_b32_e32 v1, v0
	s_mov_b32 s4, s44
	s_branch .LBB23_115
.LBB23_114:                             ;   in Loop: Header=BB23_115 Depth=1
	s_or_b64 exec, exec, s[2:3]
	s_add_i32 s4, s4, 8
	v_add_u32_e32 v1, 0x100, v1
	s_cmp_lt_u32 s4, s45
	v_add_u32_e32 v4, 0x1000, v4
	s_cbranch_scc0 .LBB23_117
.LBB23_115:                             ; =>This Inner Loop Header: Depth=1
	s_and_saveexec_b64 s[2:3], vcc
	s_cbranch_execz .LBB23_114
; %bb.116:                              ;   in Loop: Header=BB23_115 Depth=1
	ds_read2_b32 v[5:6], v4 offset1:1
	ds_read2_b32 v[7:8], v4 offset0:2 offset1:3
	v_lshlrev_b64 v[9:10], 3, v[1:2]
	v_mov_b32_e32 v11, s39
	s_waitcnt lgkmcnt(1)
	v_add_u32_e32 v5, v6, v5
	s_waitcnt lgkmcnt(0)
	v_add3_u32 v5, v5, v7, v8
	v_add_co_u32_e64 v7, s[0:1], s38, v9
	v_addc_co_u32_e64 v8, s[0:1], v11, v10, s[0:1]
	v_mov_b32_e32 v6, v2
	global_atomic_add_x2 v[7:8], v[5:6], off
	s_branch .LBB23_114
.LBB23_117:
	s_mov_b64 s[0:1], 0
.LBB23_118:
	s_and_b64 vcc, exec, s[0:1]
	s_cbranch_vccz .LBB23_170
; %bb.119:
	v_mov_b32_e32 v1, s47
	v_add_co_u32_e32 v6, vcc, s46, v3
	v_addc_co_u32_e32 v7, vcc, 0, v1, vcc
	v_add_co_u32_e32 v1, vcc, 0x1000, v6
	v_addc_co_u32_e32 v2, vcc, 0, v7, vcc
	;; [unrolled: 2-line block ×3, first 2 shown]
	global_load_dword v19, v3, s[46:47] offset:2048
	global_load_dword v17, v3, s[46:47] offset:3072
	global_load_dword v18, v[1:2], off
	global_load_dword v16, v[1:2], off offset:1024
	global_load_dword v15, v[1:2], off offset:2048
	;; [unrolled: 1-line block ×3, first 2 shown]
	global_load_dword v13, v[4:5], off
	global_load_dword v12, v[4:5], off offset:1024
	global_load_dword v11, v[4:5], off offset:2048
	;; [unrolled: 1-line block ×3, first 2 shown]
	v_add_co_u32_e32 v1, vcc, 0x3000, v6
	v_addc_co_u32_e32 v2, vcc, 0, v7, vcc
	v_add_co_u32_e32 v22, vcc, 0x4000, v6
	v_addc_co_u32_e32 v23, vcc, 0, v7, vcc
	global_load_dword v21, v3, s[46:47]
	global_load_dword v20, v3, s[46:47] offset:1024
	global_load_dword v10, v[1:2], off
	global_load_dword v8, v[1:2], off offset:1024
	global_load_dword v7, v[1:2], off offset:2048
	;; [unrolled: 1-line block ×3, first 2 shown]
	global_load_dword v5, v[22:23], off
	global_load_dword v4, v[22:23], off offset:1024
	s_cmp_eq_u32 s44, 0
	s_cselect_b64 s[0:1], -1, 0
	s_cmp_eq_u32 s45, 32
	s_cselect_b64 s[2:3], -1, 0
	s_and_b64 s[2:3], s[0:1], s[2:3]
	v_mov_b32_e32 v1, 0
	s_mov_b64 s[0:1], -1
	s_and_b64 vcc, exec, s[2:3]
	s_cbranch_vccnz .LBB23_165
; %bb.120:
	v_or_b32_e32 v2, 0xffffff00, v0
	s_mov_b64 s[0:1], 0
	s_movk_i32 s2, 0xeff
.LBB23_121:                             ; =>This Inner Loop Header: Depth=1
	v_add_u32_e32 v2, 0x100, v2
	v_cmp_lt_u32_e32 vcc, s2, v2
	ds_write_b32 v3, v1
	s_or_b64 s[0:1], vcc, s[0:1]
	v_add_u32_e32 v3, 0x400, v3
	s_andn2_b64 exec, exec, s[0:1]
	s_cbranch_execnz .LBB23_121
; %bb.122:
	s_or_b64 exec, exec, s[0:1]
	s_cmp_gt_u32 s45, s44
	s_cselect_b64 s[0:1], -1, 0
	s_cmp_le_u32 s45, s44
	s_waitcnt vmcnt(0) lgkmcnt(0)
	s_barrier
	s_cbranch_scc1 .LBB23_159
; %bb.123:
	v_and_b32_e32 v1, 3, v0
	v_lshlrev_b32_e32 v1, 2, v1
	s_sub_i32 s2, s45, s44
	v_xor_b32_e32 v2, 0x80000000, v21
	v_mov_b32_e32 v3, 1
	s_mov_b32 s3, s2
	v_mov_b32_e32 v22, v1
	s_mov_b32 s4, s44
.LBB23_124:                             ; =>This Inner Loop Header: Depth=1
	s_min_u32 s5, s3, 8
	v_lshrrev_b32_e32 v23, s4, v2
	v_bfe_u32 v23, v23, 0, s5
	v_lshl_add_u32 v23, v23, 4, v22
	ds_add_u32 v23, v3
	s_add_i32 s4, s4, 8
	s_add_i32 s3, s3, -8
	s_cmp_lt_u32 s4, s45
	v_add_u32_e32 v22, 0x1000, v22
	s_cbranch_scc1 .LBB23_124
; %bb.125:
	v_xor_b32_e32 v2, 0x80000000, v20
	v_mov_b32_e32 v3, 1
	s_mov_b32 s3, s2
	v_mov_b32_e32 v22, v1
	s_mov_b32 s4, s44
.LBB23_126:                             ; =>This Inner Loop Header: Depth=1
	s_min_u32 s5, s3, 8
	v_lshrrev_b32_e32 v23, s4, v2
	v_bfe_u32 v23, v23, 0, s5
	v_lshl_add_u32 v23, v23, 4, v22
	ds_add_u32 v23, v3
	s_add_i32 s4, s4, 8
	s_add_i32 s3, s3, -8
	s_cmp_lt_u32 s4, s45
	v_add_u32_e32 v22, 0x1000, v22
	s_cbranch_scc1 .LBB23_126
; %bb.127:
	;; [unrolled: 17-line block ×17, first 2 shown]
	v_xor_b32_e32 v2, 0x80000000, v4
	v_mov_b32_e32 v3, 1
	s_mov_b32 s3, s44
.LBB23_158:                             ; =>This Inner Loop Header: Depth=1
	s_min_u32 s4, s2, 8
	v_lshrrev_b32_e32 v22, s3, v2
	v_bfe_u32 v22, v22, 0, s4
	v_lshl_add_u32 v22, v22, 4, v1
	ds_add_u32 v22, v3
	s_add_i32 s3, s3, 8
	s_add_i32 s2, s2, -8
	s_cmp_lt_u32 s3, s45
	v_add_u32_e32 v1, 0x1000, v1
	s_cbranch_scc1 .LBB23_158
.LBB23_159:
	s_and_b64 vcc, exec, s[0:1]
	s_waitcnt lgkmcnt(0)
	s_barrier
	s_cbranch_vccz .LBB23_164
; %bb.160:
	s_movk_i32 s0, 0x100
	v_cmp_gt_u32_e32 vcc, s0, v0
	v_lshlrev_b32_e32 v3, 4, v0
	v_mov_b32_e32 v2, 0
	v_mov_b32_e32 v1, v0
	s_branch .LBB23_162
.LBB23_161:                             ;   in Loop: Header=BB23_162 Depth=1
	s_or_b64 exec, exec, s[2:3]
	s_add_i32 s44, s44, 8
	v_add_u32_e32 v1, 0x100, v1
	s_cmp_ge_u32 s44, s45
	v_add_u32_e32 v3, 0x1000, v3
	s_cbranch_scc1 .LBB23_164
.LBB23_162:                             ; =>This Inner Loop Header: Depth=1
	s_and_saveexec_b64 s[2:3], vcc
	s_cbranch_execz .LBB23_161
; %bb.163:                              ;   in Loop: Header=BB23_162 Depth=1
	ds_read2_b32 v[22:23], v3 offset1:1
	ds_read2_b32 v[24:25], v3 offset0:2 offset1:3
	v_lshlrev_b64 v[26:27], 3, v[1:2]
	v_mov_b32_e32 v28, s39
	s_waitcnt lgkmcnt(1)
	v_add_u32_e32 v22, v23, v22
	s_waitcnt lgkmcnt(0)
	v_add3_u32 v22, v22, v24, v25
	v_add_co_u32_e64 v24, s[0:1], s38, v26
	v_addc_co_u32_e64 v25, s[0:1], v28, v27, s[0:1]
	v_mov_b32_e32 v23, v2
	global_atomic_add_x2 v[24:25], v[22:23], off
	s_branch .LBB23_161
.LBB23_164:
	s_mov_b64 s[0:1], 0
.LBB23_165:
	s_and_b64 vcc, exec, s[0:1]
	s_cbranch_vccz .LBB23_170
; %bb.166:
	v_or_b32_e32 v1, 0xffffff00, v0
	v_lshlrev_b32_e32 v2, 2, v0
	s_mov_b64 s[0:1], 0
	v_mov_b32_e32 v3, 0
	s_movk_i32 s2, 0xeff
.LBB23_167:                             ; =>This Inner Loop Header: Depth=1
	v_add_u32_e32 v1, 0x100, v1
	v_cmp_lt_u32_e32 vcc, s2, v1
	ds_write_b32 v2, v3
	s_or_b64 s[0:1], vcc, s[0:1]
	v_add_u32_e32 v2, 0x400, v2
	s_andn2_b64 exec, exec, s[0:1]
	s_cbranch_execnz .LBB23_167
; %bb.168:
	s_or_b64 exec, exec, s[0:1]
	v_and_b32_e32 v1, 3, v0
	s_waitcnt vmcnt(7)
	v_lshlrev_b32_e32 v2, 4, v21
	v_lshlrev_b32_e32 v1, 2, v1
	s_movk_i32 s0, 0xff0
	v_and_or_b32 v2, v2, s0, v1
	v_mov_b32_e32 v3, 1
	s_waitcnt vmcnt(0) lgkmcnt(0)
	s_barrier
	ds_add_u32 v2, v3
	v_bfe_u32 v2, v21, 8, 8
	v_lshl_or_b32 v2, v2, 4, v1
	ds_add_u32 v2, v3 offset:4096
	v_bfe_u32 v2, v21, 16, 8
	v_lshl_or_b32 v2, v2, 4, v1
	ds_add_u32 v2, v3 offset:8192
	v_mov_b32_e32 v2, 2
	v_lshlrev_b32_sdwa v21, v2, v21 dst_sel:DWORD dst_unused:UNUSED_PAD src0_sel:DWORD src1_sel:BYTE_3
	v_xor_b32_e32 v21, 0x200, v21
	v_lshl_or_b32 v21, v21, 2, v1
	ds_add_u32 v21, v3 offset:12288
	v_lshlrev_b32_e32 v21, 4, v20
	v_and_or_b32 v21, v21, s0, v1
	ds_add_u32 v21, v3
	v_bfe_u32 v21, v20, 8, 8
	v_lshl_or_b32 v21, v21, 4, v1
	ds_add_u32 v21, v3 offset:4096
	v_bfe_u32 v21, v20, 16, 8
	v_lshlrev_b32_sdwa v20, v2, v20 dst_sel:DWORD dst_unused:UNUSED_PAD src0_sel:DWORD src1_sel:BYTE_3
	v_lshl_or_b32 v21, v21, 4, v1
	v_xor_b32_e32 v20, 0x200, v20
	ds_add_u32 v21, v3 offset:8192
	v_lshl_or_b32 v20, v20, 2, v1
	ds_add_u32 v20, v3 offset:12288
	v_lshlrev_b32_e32 v20, 4, v19
	v_and_or_b32 v20, v20, s0, v1
	ds_add_u32 v20, v3
	v_bfe_u32 v20, v19, 8, 8
	v_lshl_or_b32 v20, v20, 4, v1
	ds_add_u32 v20, v3 offset:4096
	v_bfe_u32 v20, v19, 16, 8
	v_lshlrev_b32_sdwa v19, v2, v19 dst_sel:DWORD dst_unused:UNUSED_PAD src0_sel:DWORD src1_sel:BYTE_3
	v_lshl_or_b32 v20, v20, 4, v1
	v_xor_b32_e32 v19, 0x200, v19
	ds_add_u32 v20, v3 offset:8192
	;; [unrolled: 13-line block ×3, first 2 shown]
	v_lshl_or_b32 v17, v17, 2, v1
	ds_add_u32 v17, v3 offset:12288
	v_lshlrev_b32_e32 v17, 4, v18
	v_and_or_b32 v17, v17, s0, v1
	ds_add_u32 v17, v3
	v_bfe_u32 v17, v18, 8, 8
	v_lshl_or_b32 v17, v17, 4, v1
	ds_add_u32 v17, v3 offset:4096
	v_bfe_u32 v17, v18, 16, 8
	v_lshl_or_b32 v17, v17, 4, v1
	ds_add_u32 v17, v3 offset:8192
	v_lshlrev_b32_sdwa v17, v2, v18 dst_sel:DWORD dst_unused:UNUSED_PAD src0_sel:DWORD src1_sel:BYTE_3
	v_xor_b32_e32 v17, 0x200, v17
	v_lshl_or_b32 v17, v17, 2, v1
	ds_add_u32 v17, v3 offset:12288
	v_lshlrev_b32_e32 v17, 4, v16
	v_and_or_b32 v17, v17, s0, v1
	ds_add_u32 v17, v3
	v_bfe_u32 v17, v16, 8, 8
	v_lshl_or_b32 v17, v17, 4, v1
	ds_add_u32 v17, v3 offset:4096
	v_bfe_u32 v17, v16, 16, 8
	v_lshlrev_b32_sdwa v16, v2, v16 dst_sel:DWORD dst_unused:UNUSED_PAD src0_sel:DWORD src1_sel:BYTE_3
	v_lshl_or_b32 v17, v17, 4, v1
	v_xor_b32_e32 v16, 0x200, v16
	ds_add_u32 v17, v3 offset:8192
	v_lshl_or_b32 v16, v16, 2, v1
	ds_add_u32 v16, v3 offset:12288
	v_lshlrev_b32_e32 v16, 4, v15
	v_and_or_b32 v16, v16, s0, v1
	ds_add_u32 v16, v3
	v_bfe_u32 v16, v15, 8, 8
	v_lshl_or_b32 v16, v16, 4, v1
	ds_add_u32 v16, v3 offset:4096
	v_bfe_u32 v16, v15, 16, 8
	v_lshlrev_b32_sdwa v15, v2, v15 dst_sel:DWORD dst_unused:UNUSED_PAD src0_sel:DWORD src1_sel:BYTE_3
	v_lshl_or_b32 v16, v16, 4, v1
	v_xor_b32_e32 v15, 0x200, v15
	ds_add_u32 v16, v3 offset:8192
	;; [unrolled: 13-line block ×7, first 2 shown]
	v_lshl_or_b32 v9, v9, 2, v1
	ds_add_u32 v9, v3 offset:12288
	v_lshlrev_b32_e32 v9, 4, v10
	v_and_or_b32 v9, v9, s0, v1
	ds_add_u32 v9, v3
	v_bfe_u32 v9, v10, 8, 8
	v_lshl_or_b32 v9, v9, 4, v1
	ds_add_u32 v9, v3 offset:4096
	v_bfe_u32 v9, v10, 16, 8
	v_lshl_or_b32 v9, v9, 4, v1
	ds_add_u32 v9, v3 offset:8192
	v_lshlrev_b32_sdwa v9, v2, v10 dst_sel:DWORD dst_unused:UNUSED_PAD src0_sel:DWORD src1_sel:BYTE_3
	v_xor_b32_e32 v9, 0x200, v9
	v_lshl_or_b32 v9, v9, 2, v1
	ds_add_u32 v9, v3 offset:12288
	v_lshlrev_b32_e32 v9, 4, v8
	v_and_or_b32 v9, v9, s0, v1
	ds_add_u32 v9, v3
	v_bfe_u32 v9, v8, 8, 8
	v_lshl_or_b32 v9, v9, 4, v1
	ds_add_u32 v9, v3 offset:4096
	v_bfe_u32 v9, v8, 16, 8
	v_lshlrev_b32_sdwa v8, v2, v8 dst_sel:DWORD dst_unused:UNUSED_PAD src0_sel:DWORD src1_sel:BYTE_3
	v_lshl_or_b32 v9, v9, 4, v1
	v_xor_b32_e32 v8, 0x200, v8
	ds_add_u32 v9, v3 offset:8192
	v_lshl_or_b32 v8, v8, 2, v1
	ds_add_u32 v8, v3 offset:12288
	v_lshlrev_b32_e32 v8, 4, v7
	v_and_or_b32 v8, v8, s0, v1
	ds_add_u32 v8, v3
	v_bfe_u32 v8, v7, 8, 8
	v_lshl_or_b32 v8, v8, 4, v1
	ds_add_u32 v8, v3 offset:4096
	v_bfe_u32 v8, v7, 16, 8
	v_lshlrev_b32_sdwa v7, v2, v7 dst_sel:DWORD dst_unused:UNUSED_PAD src0_sel:DWORD src1_sel:BYTE_3
	v_lshl_or_b32 v8, v8, 4, v1
	v_xor_b32_e32 v7, 0x200, v7
	ds_add_u32 v8, v3 offset:8192
	v_lshl_or_b32 v7, v7, 2, v1
	ds_add_u32 v7, v3 offset:12288
	v_lshlrev_b32_e32 v7, 4, v6
	v_and_or_b32 v7, v7, s0, v1
	ds_add_u32 v7, v3
	v_bfe_u32 v7, v6, 8, 8
	v_lshl_or_b32 v7, v7, 4, v1
	ds_add_u32 v7, v3 offset:4096
	v_bfe_u32 v7, v6, 16, 8
	v_lshlrev_b32_sdwa v6, v2, v6 dst_sel:DWORD dst_unused:UNUSED_PAD src0_sel:DWORD src1_sel:BYTE_3
	v_lshl_or_b32 v7, v7, 4, v1
	v_xor_b32_e32 v6, 0x200, v6
	ds_add_u32 v7, v3 offset:8192
	v_lshl_or_b32 v6, v6, 2, v1
	ds_add_u32 v6, v3 offset:12288
	v_lshlrev_b32_e32 v6, 4, v5
	v_and_or_b32 v6, v6, s0, v1
	ds_add_u32 v6, v3
	v_bfe_u32 v6, v5, 8, 8
	v_lshl_or_b32 v6, v6, 4, v1
	ds_add_u32 v6, v3 offset:4096
	v_bfe_u32 v6, v5, 16, 8
	v_lshlrev_b32_sdwa v5, v2, v5 dst_sel:DWORD dst_unused:UNUSED_PAD src0_sel:DWORD src1_sel:BYTE_3
	v_lshl_or_b32 v6, v6, 4, v1
	v_xor_b32_e32 v5, 0x200, v5
	ds_add_u32 v6, v3 offset:8192
	v_lshl_or_b32 v5, v5, 2, v1
	ds_add_u32 v5, v3 offset:12288
	v_lshlrev_b32_e32 v5, 4, v4
	v_and_or_b32 v5, v5, s0, v1
	ds_add_u32 v5, v3
	v_bfe_u32 v5, v4, 8, 8
	v_lshl_or_b32 v5, v5, 4, v1
	ds_add_u32 v5, v3 offset:4096
	v_bfe_u32 v5, v4, 16, 8
	v_lshlrev_b32_sdwa v2, v2, v4 dst_sel:DWORD dst_unused:UNUSED_PAD src0_sel:DWORD src1_sel:BYTE_3
	v_lshl_or_b32 v5, v5, 4, v1
	v_xor_b32_e32 v2, 0x200, v2
	ds_add_u32 v5, v3 offset:8192
	v_lshl_or_b32 v1, v2, 2, v1
	ds_add_u32 v1, v3 offset:12288
	s_movk_i32 s0, 0x100
	v_cmp_gt_u32_e32 vcc, s0, v0
	s_waitcnt lgkmcnt(0)
	s_barrier
	s_and_saveexec_b64 s[0:1], vcc
	s_cbranch_execz .LBB23_170
; %bb.169:
	v_lshlrev_b32_e32 v6, 4, v0
	ds_read2_b32 v[1:2], v6 offset1:1
	ds_read2_b32 v[3:4], v6 offset0:2 offset1:3
	v_lshlrev_b32_e32 v7, 3, v0
	v_mov_b32_e32 v5, 0
	v_or_b32_e32 v0, 0x1000, v6
	s_waitcnt lgkmcnt(1)
	v_add_u32_e32 v1, v2, v1
	s_waitcnt lgkmcnt(0)
	v_add3_u32 v4, v1, v3, v4
	global_atomic_add_x2 v7, v[4:5], s[38:39]
	v_or_b32_e32 v2, 0x1008, v6
	ds_read2_b32 v[0:1], v0 offset1:1
	ds_read2_b32 v[2:3], v2 offset1:1
	v_or_b32_e32 v9, 0x2000, v6
	v_mov_b32_e32 v8, s39
	s_movk_i32 s0, 0x1000
	s_waitcnt lgkmcnt(1)
	v_add_u32_e32 v0, v1, v0
	s_waitcnt lgkmcnt(0)
	v_add3_u32 v4, v0, v2, v3
	global_atomic_add_x2 v7, v[4:5], s[38:39] offset:2048
	v_or_b32_e32 v2, 0x2008, v6
	ds_read2_b32 v[0:1], v9 offset1:1
	ds_read2_b32 v[2:3], v2 offset1:1
	v_add_co_u32_e32 v7, vcc, s38, v7
	v_addc_co_u32_e32 v8, vcc, 0, v8, vcc
	s_waitcnt lgkmcnt(1)
	v_add_u32_e32 v0, v1, v0
	s_waitcnt lgkmcnt(0)
	v_add3_u32 v4, v0, v2, v3
	v_add_co_u32_e32 v0, vcc, s0, v7
	v_addc_co_u32_e32 v1, vcc, 0, v8, vcc
	global_atomic_add_x2 v[0:1], v[4:5], off
	v_or_b32_e32 v2, 0x3000, v6
	v_or_b32_e32 v4, 0x3008, v6
	ds_read2_b32 v[2:3], v2 offset1:1
	ds_read2_b32 v[6:7], v4 offset1:1
	s_waitcnt lgkmcnt(1)
	v_add_u32_e32 v2, v3, v2
	s_waitcnt lgkmcnt(0)
	v_add3_u32 v4, v2, v6, v7
	global_atomic_add_x2 v[0:1], v[4:5], off offset:2048
.LBB23_170:
	s_endpgm
	.section	.rodata,"a",@progbits
	.p2align	6, 0x0
	.amdhsa_kernel _ZN7rocprim17ROCPRIM_304000_NS6detail26onesweep_histograms_kernelINS1_34wrapped_radix_sort_onesweep_configINS0_14default_configEiN2at4cuda3cub6detail10OpaqueTypeILi2EEEEELb0EPKimNS0_19identity_decomposerEEEvT1_PT2_SG_SG_T3_jj
		.amdhsa_group_segment_fixed_size 16384
		.amdhsa_private_segment_fixed_size 0
		.amdhsa_kernarg_size 44
		.amdhsa_user_sgpr_count 6
		.amdhsa_user_sgpr_private_segment_buffer 1
		.amdhsa_user_sgpr_dispatch_ptr 0
		.amdhsa_user_sgpr_queue_ptr 0
		.amdhsa_user_sgpr_kernarg_segment_ptr 1
		.amdhsa_user_sgpr_dispatch_id 0
		.amdhsa_user_sgpr_flat_scratch_init 0
		.amdhsa_user_sgpr_private_segment_size 0
		.amdhsa_uses_dynamic_stack 0
		.amdhsa_system_sgpr_private_segment_wavefront_offset 0
		.amdhsa_system_sgpr_workgroup_id_x 1
		.amdhsa_system_sgpr_workgroup_id_y 0
		.amdhsa_system_sgpr_workgroup_id_z 0
		.amdhsa_system_sgpr_workgroup_info 0
		.amdhsa_system_vgpr_workitem_id 0
		.amdhsa_next_free_vgpr 49
		.amdhsa_next_free_sgpr 98
		.amdhsa_reserve_vcc 1
		.amdhsa_reserve_flat_scratch 0
		.amdhsa_float_round_mode_32 0
		.amdhsa_float_round_mode_16_64 0
		.amdhsa_float_denorm_mode_32 3
		.amdhsa_float_denorm_mode_16_64 3
		.amdhsa_dx10_clamp 1
		.amdhsa_ieee_mode 1
		.amdhsa_fp16_overflow 0
		.amdhsa_exception_fp_ieee_invalid_op 0
		.amdhsa_exception_fp_denorm_src 0
		.amdhsa_exception_fp_ieee_div_zero 0
		.amdhsa_exception_fp_ieee_overflow 0
		.amdhsa_exception_fp_ieee_underflow 0
		.amdhsa_exception_fp_ieee_inexact 0
		.amdhsa_exception_int_div_zero 0
	.end_amdhsa_kernel
	.section	.text._ZN7rocprim17ROCPRIM_304000_NS6detail26onesweep_histograms_kernelINS1_34wrapped_radix_sort_onesweep_configINS0_14default_configEiN2at4cuda3cub6detail10OpaqueTypeILi2EEEEELb0EPKimNS0_19identity_decomposerEEEvT1_PT2_SG_SG_T3_jj,"axG",@progbits,_ZN7rocprim17ROCPRIM_304000_NS6detail26onesweep_histograms_kernelINS1_34wrapped_radix_sort_onesweep_configINS0_14default_configEiN2at4cuda3cub6detail10OpaqueTypeILi2EEEEELb0EPKimNS0_19identity_decomposerEEEvT1_PT2_SG_SG_T3_jj,comdat
.Lfunc_end23:
	.size	_ZN7rocprim17ROCPRIM_304000_NS6detail26onesweep_histograms_kernelINS1_34wrapped_radix_sort_onesweep_configINS0_14default_configEiN2at4cuda3cub6detail10OpaqueTypeILi2EEEEELb0EPKimNS0_19identity_decomposerEEEvT1_PT2_SG_SG_T3_jj, .Lfunc_end23-_ZN7rocprim17ROCPRIM_304000_NS6detail26onesweep_histograms_kernelINS1_34wrapped_radix_sort_onesweep_configINS0_14default_configEiN2at4cuda3cub6detail10OpaqueTypeILi2EEEEELb0EPKimNS0_19identity_decomposerEEEvT1_PT2_SG_SG_T3_jj
                                        ; -- End function
	.set _ZN7rocprim17ROCPRIM_304000_NS6detail26onesweep_histograms_kernelINS1_34wrapped_radix_sort_onesweep_configINS0_14default_configEiN2at4cuda3cub6detail10OpaqueTypeILi2EEEEELb0EPKimNS0_19identity_decomposerEEEvT1_PT2_SG_SG_T3_jj.num_vgpr, 29
	.set _ZN7rocprim17ROCPRIM_304000_NS6detail26onesweep_histograms_kernelINS1_34wrapped_radix_sort_onesweep_configINS0_14default_configEiN2at4cuda3cub6detail10OpaqueTypeILi2EEEEELb0EPKimNS0_19identity_decomposerEEEvT1_PT2_SG_SG_T3_jj.num_agpr, 0
	.set _ZN7rocprim17ROCPRIM_304000_NS6detail26onesweep_histograms_kernelINS1_34wrapped_radix_sort_onesweep_configINS0_14default_configEiN2at4cuda3cub6detail10OpaqueTypeILi2EEEEELb0EPKimNS0_19identity_decomposerEEEvT1_PT2_SG_SG_T3_jj.numbered_sgpr, 51
	.set _ZN7rocprim17ROCPRIM_304000_NS6detail26onesweep_histograms_kernelINS1_34wrapped_radix_sort_onesweep_configINS0_14default_configEiN2at4cuda3cub6detail10OpaqueTypeILi2EEEEELb0EPKimNS0_19identity_decomposerEEEvT1_PT2_SG_SG_T3_jj.num_named_barrier, 0
	.set _ZN7rocprim17ROCPRIM_304000_NS6detail26onesweep_histograms_kernelINS1_34wrapped_radix_sort_onesweep_configINS0_14default_configEiN2at4cuda3cub6detail10OpaqueTypeILi2EEEEELb0EPKimNS0_19identity_decomposerEEEvT1_PT2_SG_SG_T3_jj.private_seg_size, 0
	.set _ZN7rocprim17ROCPRIM_304000_NS6detail26onesweep_histograms_kernelINS1_34wrapped_radix_sort_onesweep_configINS0_14default_configEiN2at4cuda3cub6detail10OpaqueTypeILi2EEEEELb0EPKimNS0_19identity_decomposerEEEvT1_PT2_SG_SG_T3_jj.uses_vcc, 1
	.set _ZN7rocprim17ROCPRIM_304000_NS6detail26onesweep_histograms_kernelINS1_34wrapped_radix_sort_onesweep_configINS0_14default_configEiN2at4cuda3cub6detail10OpaqueTypeILi2EEEEELb0EPKimNS0_19identity_decomposerEEEvT1_PT2_SG_SG_T3_jj.uses_flat_scratch, 0
	.set _ZN7rocprim17ROCPRIM_304000_NS6detail26onesweep_histograms_kernelINS1_34wrapped_radix_sort_onesweep_configINS0_14default_configEiN2at4cuda3cub6detail10OpaqueTypeILi2EEEEELb0EPKimNS0_19identity_decomposerEEEvT1_PT2_SG_SG_T3_jj.has_dyn_sized_stack, 0
	.set _ZN7rocprim17ROCPRIM_304000_NS6detail26onesweep_histograms_kernelINS1_34wrapped_radix_sort_onesweep_configINS0_14default_configEiN2at4cuda3cub6detail10OpaqueTypeILi2EEEEELb0EPKimNS0_19identity_decomposerEEEvT1_PT2_SG_SG_T3_jj.has_recursion, 0
	.set _ZN7rocprim17ROCPRIM_304000_NS6detail26onesweep_histograms_kernelINS1_34wrapped_radix_sort_onesweep_configINS0_14default_configEiN2at4cuda3cub6detail10OpaqueTypeILi2EEEEELb0EPKimNS0_19identity_decomposerEEEvT1_PT2_SG_SG_T3_jj.has_indirect_call, 0
	.section	.AMDGPU.csdata,"",@progbits
; Kernel info:
; codeLenInByte = 7168
; TotalNumSgprs: 55
; NumVgprs: 29
; ScratchSize: 0
; MemoryBound: 0
; FloatMode: 240
; IeeeMode: 1
; LDSByteSize: 16384 bytes/workgroup (compile time only)
; SGPRBlocks: 12
; VGPRBlocks: 12
; NumSGPRsForWavesPerEU: 102
; NumVGPRsForWavesPerEU: 49
; Occupancy: 4
; WaveLimiterHint : 1
; COMPUTE_PGM_RSRC2:SCRATCH_EN: 0
; COMPUTE_PGM_RSRC2:USER_SGPR: 6
; COMPUTE_PGM_RSRC2:TRAP_HANDLER: 0
; COMPUTE_PGM_RSRC2:TGID_X_EN: 1
; COMPUTE_PGM_RSRC2:TGID_Y_EN: 0
; COMPUTE_PGM_RSRC2:TGID_Z_EN: 0
; COMPUTE_PGM_RSRC2:TIDIG_COMP_CNT: 0
	.section	.text._ZN7rocprim17ROCPRIM_304000_NS6detail25onesweep_iteration_kernelINS1_34wrapped_radix_sort_onesweep_configINS0_14default_configEiN2at4cuda3cub6detail10OpaqueTypeILi2EEEEELb0EPKiPiPKSA_PSA_mNS0_19identity_decomposerEEEvT1_T2_T3_T4_jPT5_SO_PNS1_23onesweep_lookback_stateET6_jjj,"axG",@progbits,_ZN7rocprim17ROCPRIM_304000_NS6detail25onesweep_iteration_kernelINS1_34wrapped_radix_sort_onesweep_configINS0_14default_configEiN2at4cuda3cub6detail10OpaqueTypeILi2EEEEELb0EPKiPiPKSA_PSA_mNS0_19identity_decomposerEEEvT1_T2_T3_T4_jPT5_SO_PNS1_23onesweep_lookback_stateET6_jjj,comdat
	.protected	_ZN7rocprim17ROCPRIM_304000_NS6detail25onesweep_iteration_kernelINS1_34wrapped_radix_sort_onesweep_configINS0_14default_configEiN2at4cuda3cub6detail10OpaqueTypeILi2EEEEELb0EPKiPiPKSA_PSA_mNS0_19identity_decomposerEEEvT1_T2_T3_T4_jPT5_SO_PNS1_23onesweep_lookback_stateET6_jjj ; -- Begin function _ZN7rocprim17ROCPRIM_304000_NS6detail25onesweep_iteration_kernelINS1_34wrapped_radix_sort_onesweep_configINS0_14default_configEiN2at4cuda3cub6detail10OpaqueTypeILi2EEEEELb0EPKiPiPKSA_PSA_mNS0_19identity_decomposerEEEvT1_T2_T3_T4_jPT5_SO_PNS1_23onesweep_lookback_stateET6_jjj
	.globl	_ZN7rocprim17ROCPRIM_304000_NS6detail25onesweep_iteration_kernelINS1_34wrapped_radix_sort_onesweep_configINS0_14default_configEiN2at4cuda3cub6detail10OpaqueTypeILi2EEEEELb0EPKiPiPKSA_PSA_mNS0_19identity_decomposerEEEvT1_T2_T3_T4_jPT5_SO_PNS1_23onesweep_lookback_stateET6_jjj
	.p2align	8
	.type	_ZN7rocprim17ROCPRIM_304000_NS6detail25onesweep_iteration_kernelINS1_34wrapped_radix_sort_onesweep_configINS0_14default_configEiN2at4cuda3cub6detail10OpaqueTypeILi2EEEEELb0EPKiPiPKSA_PSA_mNS0_19identity_decomposerEEEvT1_T2_T3_T4_jPT5_SO_PNS1_23onesweep_lookback_stateET6_jjj,@function
_ZN7rocprim17ROCPRIM_304000_NS6detail25onesweep_iteration_kernelINS1_34wrapped_radix_sort_onesweep_configINS0_14default_configEiN2at4cuda3cub6detail10OpaqueTypeILi2EEEEELb0EPKiPiPKSA_PSA_mNS0_19identity_decomposerEEEvT1_T2_T3_T4_jPT5_SO_PNS1_23onesweep_lookback_stateET6_jjj: ; @_ZN7rocprim17ROCPRIM_304000_NS6detail25onesweep_iteration_kernelINS1_34wrapped_radix_sort_onesweep_configINS0_14default_configEiN2at4cuda3cub6detail10OpaqueTypeILi2EEEEELb0EPKiPiPKSA_PSA_mNS0_19identity_decomposerEEEvT1_T2_T3_T4_jPT5_SO_PNS1_23onesweep_lookback_stateET6_jjj
; %bb.0:
	s_load_dwordx8 s[80:87], s[4:5], 0x0
	s_load_dwordx4 s[92:95], s[4:5], 0x44
	s_load_dwordx4 s[0:3], s[4:5], 0x28
                                        ; implicit-def: $vgpr88 : SGPR spill to VGPR lane
	s_load_dwordx2 s[88:89], s[4:5], 0x38
	s_mov_b32 s7, s6
	s_mul_i32 s78, s6, 0x1200
	s_waitcnt lgkmcnt(0)
	s_cmp_ge_u32 s6, s94
	v_writelane_b32 v88, s0, 0
	v_writelane_b32 v88, s1, 1
	;; [unrolled: 1-line block ×4, first 2 shown]
	s_mov_b64 s[0:1], -1
	v_mbcnt_lo_u32_b32 v9, -1, 0
	s_cbranch_scc0 .LBB24_218
; %bb.1:
	s_load_dword s2, s[4:5], 0x20
	s_mul_i32 s90, s94, 0xffffee00
	s_mov_b32 s79, 0
	s_lshl_b64 s[0:1], s[78:79], 2
	v_mbcnt_hi_u32_b32 v11, -1, v9
	s_waitcnt lgkmcnt(0)
	s_add_i32 s90, s90, s2
	s_add_u32 s0, s80, s0
	s_addc_u32 s1, s81, s1
	v_and_b32_e32 v20, 0xc0, v0
	v_lshlrev_b32_e32 v3, 2, v11
	v_mul_u32_u24_e32 v10, 18, v20
	v_mov_b32_e32 v4, s1
	v_add_co_u32_e32 v3, vcc, s0, v3
	v_addc_co_u32_e32 v4, vcc, 0, v4, vcc
	v_lshlrev_b32_e32 v5, 2, v10
	v_add_co_u32_e32 v3, vcc, v3, v5
	v_or_b32_e32 v5, v11, v10
	v_mov_b32_e32 v7, -1
	v_addc_co_u32_e32 v4, vcc, 0, v4, vcc
	v_cmp_gt_u32_e64 s[0:1], s90, v5
	v_mov_b32_e32 v8, -1
	s_and_saveexec_b64 s[2:3], s[0:1]
	s_cbranch_execz .LBB24_3
; %bb.2:
	global_load_dword v6, v[3:4], off
	s_waitcnt vmcnt(0)
	v_xor_b32_e32 v8, 0x80000000, v6
.LBB24_3:
	s_or_b64 exec, exec, s[2:3]
	v_add_u32_e32 v6, 64, v5
	v_cmp_gt_u32_e64 s[2:3], s90, v6
	s_and_saveexec_b64 s[8:9], s[2:3]
	s_cbranch_execz .LBB24_5
; %bb.4:
	global_load_dword v6, v[3:4], off offset:256
	s_waitcnt vmcnt(0)
	v_xor_b32_e32 v7, 0x80000000, v6
.LBB24_5:
	s_or_b64 exec, exec, s[8:9]
	v_add_u32_e32 v6, 0x80, v5
	v_cmp_gt_u32_e64 s[74:75], s90, v6
	v_mov_b32_e32 v12, -1
	v_mov_b32_e32 v13, -1
	s_and_saveexec_b64 s[8:9], s[74:75]
	s_cbranch_execz .LBB24_7
; %bb.6:
	global_load_dword v6, v[3:4], off offset:512
	s_waitcnt vmcnt(0)
	v_xor_b32_e32 v13, 0x80000000, v6
.LBB24_7:
	s_or_b64 exec, exec, s[8:9]
	v_add_u32_e32 v6, 0xc0, v5
	v_cmp_gt_u32_e64 s[8:9], s90, v6
	s_and_saveexec_b64 s[10:11], s[8:9]
	s_cbranch_execz .LBB24_9
; %bb.8:
	global_load_dword v6, v[3:4], off offset:768
	s_waitcnt vmcnt(0)
	v_xor_b32_e32 v12, 0x80000000, v6
.LBB24_9:
	s_or_b64 exec, exec, s[10:11]
	v_add_u32_e32 v6, 0x100, v5
	v_cmp_gt_u32_e64 s[10:11], s90, v6
	v_mov_b32_e32 v14, -1
	v_mov_b32_e32 v15, -1
	s_and_saveexec_b64 s[12:13], s[10:11]
	s_cbranch_execz .LBB24_11
; %bb.10:
	global_load_dword v6, v[3:4], off offset:1024
	s_waitcnt vmcnt(0)
	v_xor_b32_e32 v15, 0x80000000, v6
.LBB24_11:
	;; [unrolled: 22-line block ×7, first 2 shown]
	s_or_b64 exec, exec, s[34:35]
	v_add_u32_e32 v6, 0x3c0, v5
	v_cmp_gt_u32_e64 s[34:35], s90, v6
	s_and_saveexec_b64 s[36:37], s[34:35]
	s_cbranch_execz .LBB24_33
; %bb.32:
	global_load_dword v6, v[3:4], off offset:3840
	s_waitcnt vmcnt(0)
	v_xor_b32_e32 v25, 0x80000000, v6
.LBB24_33:
	s_or_b64 exec, exec, s[36:37]
	v_add_u32_e32 v6, 0x400, v5
	v_cmp_gt_u32_e64 s[36:37], s90, v6
	v_mov_b32_e32 v27, -1
	v_mov_b32_e32 v28, -1
	s_and_saveexec_b64 s[38:39], s[36:37]
	s_cbranch_execz .LBB24_35
; %bb.34:
	v_add_co_u32_e32 v28, vcc, 0x1000, v3
	v_addc_co_u32_e32 v29, vcc, 0, v4, vcc
	global_load_dword v6, v[28:29], off
	s_waitcnt vmcnt(0)
	v_xor_b32_e32 v28, 0x80000000, v6
.LBB24_35:
	s_or_b64 exec, exec, s[38:39]
	v_add_u32_e32 v5, 0x440, v5
	v_cmp_gt_u32_e64 s[38:39], s90, v5
	s_and_saveexec_b64 s[40:41], s[38:39]
	s_cbranch_execz .LBB24_37
; %bb.36:
	v_add_co_u32_e32 v3, vcc, 0x1000, v3
	v_addc_co_u32_e32 v4, vcc, 0, v4, vcc
	global_load_dword v3, v[3:4], off offset:256
	s_waitcnt vmcnt(0)
	v_xor_b32_e32 v27, 0x80000000, v3
.LBB24_37:
	s_or_b64 exec, exec, s[40:41]
	s_load_dword s40, s[4:5], 0x5c
	s_load_dword s33, s[4:5], 0x50
	s_add_u32 s41, s4, 0x50
	s_addc_u32 s42, s5, 0
	v_mov_b32_e32 v3, 0
	s_waitcnt lgkmcnt(0)
	s_lshr_b32 s43, s40, 16
	s_cmp_lt_u32 s6, s33
	s_cselect_b32 s40, 12, 18
	s_add_u32 s40, s41, s40
	s_addc_u32 s41, s42, 0
	global_load_ushort v5, v3, s[40:41]
	s_lshl_b32 s40, -1, s93
	v_lshrrev_b32_e32 v4, s92, v8
	s_not_b32 s94, s40
	v_and_b32_e32 v30, s94, v4
	v_and_b32_e32 v31, 1, v30
	v_add_co_u32_e32 v33, vcc, -1, v31
	v_lshlrev_b32_e32 v4, 30, v30
	v_addc_co_u32_e64 v34, s[40:41], 0, -1, vcc
	v_cmp_ne_u32_e32 vcc, 0, v31
	v_cmp_gt_i64_e64 s[40:41], 0, v[3:4]
	v_not_b32_e32 v31, v4
	v_lshlrev_b32_e32 v4, 29, v30
	v_xor_b32_e32 v34, vcc_hi, v34
	v_xor_b32_e32 v33, vcc_lo, v33
	v_ashrrev_i32_e32 v31, 31, v31
	v_cmp_gt_i64_e32 vcc, 0, v[3:4]
	v_not_b32_e32 v35, v4
	v_lshlrev_b32_e32 v4, 28, v30
	v_and_b32_e32 v34, exec_hi, v34
	v_and_b32_e32 v33, exec_lo, v33
	v_xor_b32_e32 v36, s41, v31
	v_xor_b32_e32 v31, s40, v31
	v_ashrrev_i32_e32 v35, 31, v35
	v_cmp_gt_i64_e64 s[40:41], 0, v[3:4]
	v_not_b32_e32 v37, v4
	v_lshlrev_b32_e32 v4, 27, v30
	v_and_b32_e32 v34, v34, v36
	v_and_b32_e32 v31, v33, v31
	v_xor_b32_e32 v33, vcc_hi, v35
	v_xor_b32_e32 v35, vcc_lo, v35
	v_ashrrev_i32_e32 v36, 31, v37
	v_cmp_gt_i64_e32 vcc, 0, v[3:4]
	v_not_b32_e32 v37, v4
	v_lshlrev_b32_e32 v4, 26, v30
	v_and_b32_e32 v33, v34, v33
	v_and_b32_e32 v31, v31, v35
	v_xor_b32_e32 v34, s41, v36
	v_xor_b32_e32 v35, s40, v36
	v_ashrrev_i32_e32 v36, 31, v37
	v_cmp_gt_i64_e64 s[40:41], 0, v[3:4]
	v_not_b32_e32 v37, v4
	v_lshlrev_b32_e32 v4, 25, v30
	v_and_b32_e32 v33, v33, v34
	v_and_b32_e32 v31, v31, v35
	v_xor_b32_e32 v34, vcc_hi, v36
	v_xor_b32_e32 v35, vcc_lo, v36
	v_ashrrev_i32_e32 v36, 31, v37
	v_cmp_gt_i64_e32 vcc, 0, v[3:4]
	v_not_b32_e32 v37, v4
	v_mul_lo_u32 v32, v30, 20
	v_lshlrev_b32_e32 v4, 24, v30
	v_and_b32_e32 v30, v33, v34
	v_and_b32_e32 v31, v31, v35
	v_xor_b32_e32 v33, s41, v36
	v_xor_b32_e32 v34, s40, v36
	v_ashrrev_i32_e32 v35, 31, v37
	v_mad_u32_u24 v6, v2, s43, v1
	v_and_b32_e32 v30, v30, v33
	v_and_b32_e32 v31, v31, v34
	v_xor_b32_e32 v33, vcc_hi, v35
	v_xor_b32_e32 v34, vcc_lo, v35
	v_cmp_gt_i64_e64 s[40:41], 0, v[3:4]
	v_not_b32_e32 v4, v4
	v_and_b32_e32 v33, v30, v33
	v_and_b32_e32 v34, v31, v34
	v_ashrrev_i32_e32 v4, 31, v4
	v_xor_b32_e32 v35, s41, v4
	v_xor_b32_e32 v4, s40, v4
	v_and_b32_e32 v4, v34, v4
	v_mul_u32_u24_e32 v29, 20, v0
	ds_write2_b32 v29, v3, v3 offset0:4 offset1:5
	ds_write2_b32 v29, v3, v3 offset0:6 offset1:7
	ds_write_b32 v29, v3 offset:32
	s_waitcnt vmcnt(0) lgkmcnt(0)
	s_barrier
	; wave barrier
	v_mad_u64_u32 v[30:31], s[42:43], v6, v5, v[0:1]
	v_and_b32_e32 v5, v33, v35
	v_cmp_ne_u64_e32 vcc, 0, v[4:5]
	v_lshrrev_b32_e32 v6, 6, v30
	v_mbcnt_lo_u32_b32 v30, v4, 0
	v_mbcnt_hi_u32_b32 v30, v5, v30
	v_cmp_eq_u32_e64 s[40:41], 0, v30
	v_lshl_add_u32 v31, v6, 2, v32
	s_and_b64 s[42:43], vcc, s[40:41]
	s_and_saveexec_b64 s[40:41], s[42:43]
; %bb.38:
	v_bcnt_u32_b32 v4, v4, 0
	v_bcnt_u32_b32 v4, v5, v4
	ds_write_b32 v31, v4 offset:16
; %bb.39:
	s_or_b64 exec, exec, s[40:41]
	v_lshrrev_b32_e32 v4, s92, v7
	v_and_b32_e32 v5, s94, v4
	v_mul_lo_u32 v4, v5, 20
	v_and_b32_e32 v34, 1, v5
	; wave barrier
	v_lshl_add_u32 v33, v6, 2, v4
	v_add_co_u32_e32 v4, vcc, -1, v34
	v_addc_co_u32_e64 v35, s[40:41], 0, -1, vcc
	v_cmp_ne_u32_e32 vcc, 0, v34
	v_xor_b32_e32 v4, vcc_lo, v4
	v_xor_b32_e32 v34, vcc_hi, v35
	v_and_b32_e32 v35, exec_lo, v4
	v_lshlrev_b32_e32 v4, 30, v5
	v_cmp_gt_i64_e32 vcc, 0, v[3:4]
	v_not_b32_e32 v4, v4
	v_ashrrev_i32_e32 v4, 31, v4
	v_xor_b32_e32 v36, vcc_hi, v4
	v_xor_b32_e32 v4, vcc_lo, v4
	v_and_b32_e32 v35, v35, v4
	v_lshlrev_b32_e32 v4, 29, v5
	v_cmp_gt_i64_e32 vcc, 0, v[3:4]
	v_not_b32_e32 v4, v4
	v_and_b32_e32 v34, exec_hi, v34
	v_ashrrev_i32_e32 v4, 31, v4
	v_and_b32_e32 v34, v34, v36
	v_xor_b32_e32 v36, vcc_hi, v4
	v_xor_b32_e32 v4, vcc_lo, v4
	v_and_b32_e32 v35, v35, v4
	v_lshlrev_b32_e32 v4, 28, v5
	v_cmp_gt_i64_e32 vcc, 0, v[3:4]
	v_not_b32_e32 v4, v4
	v_ashrrev_i32_e32 v4, 31, v4
	v_and_b32_e32 v34, v34, v36
	v_xor_b32_e32 v36, vcc_hi, v4
	v_xor_b32_e32 v4, vcc_lo, v4
	v_and_b32_e32 v35, v35, v4
	v_lshlrev_b32_e32 v4, 27, v5
	v_cmp_gt_i64_e32 vcc, 0, v[3:4]
	v_not_b32_e32 v4, v4
	;; [unrolled: 8-line block ×5, first 2 shown]
	v_ashrrev_i32_e32 v3, 31, v3
	v_xor_b32_e32 v4, vcc_hi, v3
	v_xor_b32_e32 v3, vcc_lo, v3
	ds_read_b32 v32, v33 offset:16
	v_and_b32_e32 v34, v34, v36
	v_and_b32_e32 v3, v35, v3
	;; [unrolled: 1-line block ×3, first 2 shown]
	v_mbcnt_lo_u32_b32 v5, v3, 0
	v_mbcnt_hi_u32_b32 v34, v4, v5
	v_cmp_ne_u64_e32 vcc, 0, v[3:4]
	v_cmp_eq_u32_e64 s[40:41], 0, v34
	s_and_b64 s[42:43], vcc, s[40:41]
	; wave barrier
	s_and_saveexec_b64 s[40:41], s[42:43]
	s_cbranch_execz .LBB24_41
; %bb.40:
	v_bcnt_u32_b32 v3, v3, 0
	v_bcnt_u32_b32 v3, v4, v3
	s_waitcnt lgkmcnt(0)
	v_add_u32_e32 v3, v32, v3
	ds_write_b32 v33, v3 offset:16
.LBB24_41:
	s_or_b64 exec, exec, s[40:41]
	v_lshrrev_b32_e32 v3, s92, v13
	v_and_b32_e32 v5, s94, v3
	v_mul_lo_u32 v3, v5, 20
	v_and_b32_e32 v4, 1, v5
	v_add_co_u32_e32 v37, vcc, -1, v4
	v_addc_co_u32_e64 v38, s[40:41], 0, -1, vcc
	v_cmp_ne_u32_e32 vcc, 0, v4
	v_xor_b32_e32 v4, vcc_hi, v38
	v_lshl_add_u32 v36, v6, 2, v3
	v_mov_b32_e32 v3, 0
	v_and_b32_e32 v38, exec_hi, v4
	v_lshlrev_b32_e32 v4, 30, v5
	v_xor_b32_e32 v37, vcc_lo, v37
	v_cmp_gt_i64_e32 vcc, 0, v[3:4]
	v_not_b32_e32 v4, v4
	v_ashrrev_i32_e32 v4, 31, v4
	v_and_b32_e32 v37, exec_lo, v37
	v_xor_b32_e32 v39, vcc_hi, v4
	v_xor_b32_e32 v4, vcc_lo, v4
	v_and_b32_e32 v37, v37, v4
	v_lshlrev_b32_e32 v4, 29, v5
	v_cmp_gt_i64_e32 vcc, 0, v[3:4]
	v_not_b32_e32 v4, v4
	v_ashrrev_i32_e32 v4, 31, v4
	v_and_b32_e32 v38, v38, v39
	v_xor_b32_e32 v39, vcc_hi, v4
	v_xor_b32_e32 v4, vcc_lo, v4
	v_and_b32_e32 v37, v37, v4
	v_lshlrev_b32_e32 v4, 28, v5
	v_cmp_gt_i64_e32 vcc, 0, v[3:4]
	v_not_b32_e32 v4, v4
	v_ashrrev_i32_e32 v4, 31, v4
	v_and_b32_e32 v38, v38, v39
	;; [unrolled: 8-line block ×5, first 2 shown]
	v_xor_b32_e32 v39, vcc_hi, v4
	v_xor_b32_e32 v4, vcc_lo, v4
	v_and_b32_e32 v37, v37, v4
	v_lshlrev_b32_e32 v4, 24, v5
	v_cmp_gt_i64_e32 vcc, 0, v[3:4]
	v_not_b32_e32 v4, v4
	v_ashrrev_i32_e32 v4, 31, v4
	v_xor_b32_e32 v5, vcc_hi, v4
	v_xor_b32_e32 v4, vcc_lo, v4
	; wave barrier
	ds_read_b32 v35, v36 offset:16
	v_and_b32_e32 v38, v38, v39
	v_and_b32_e32 v4, v37, v4
	;; [unrolled: 1-line block ×3, first 2 shown]
	v_mbcnt_lo_u32_b32 v37, v4, 0
	v_mbcnt_hi_u32_b32 v37, v5, v37
	v_cmp_ne_u64_e32 vcc, 0, v[4:5]
	v_cmp_eq_u32_e64 s[40:41], 0, v37
	s_and_b64 s[42:43], vcc, s[40:41]
	; wave barrier
	s_and_saveexec_b64 s[40:41], s[42:43]
	s_cbranch_execz .LBB24_43
; %bb.42:
	v_bcnt_u32_b32 v4, v4, 0
	v_bcnt_u32_b32 v4, v5, v4
	s_waitcnt lgkmcnt(0)
	v_add_u32_e32 v4, v35, v4
	ds_write_b32 v36, v4 offset:16
.LBB24_43:
	s_or_b64 exec, exec, s[40:41]
	v_lshrrev_b32_e32 v4, s92, v12
	v_and_b32_e32 v5, s94, v4
	v_mul_lo_u32 v4, v5, 20
	v_and_b32_e32 v40, 1, v5
	; wave barrier
	v_lshl_add_u32 v39, v6, 2, v4
	v_add_co_u32_e32 v4, vcc, -1, v40
	v_addc_co_u32_e64 v41, s[40:41], 0, -1, vcc
	v_cmp_ne_u32_e32 vcc, 0, v40
	v_xor_b32_e32 v4, vcc_lo, v4
	v_xor_b32_e32 v40, vcc_hi, v41
	v_and_b32_e32 v41, exec_lo, v4
	v_lshlrev_b32_e32 v4, 30, v5
	v_cmp_gt_i64_e32 vcc, 0, v[3:4]
	v_not_b32_e32 v4, v4
	v_ashrrev_i32_e32 v4, 31, v4
	v_xor_b32_e32 v42, vcc_hi, v4
	v_xor_b32_e32 v4, vcc_lo, v4
	v_and_b32_e32 v41, v41, v4
	v_lshlrev_b32_e32 v4, 29, v5
	v_cmp_gt_i64_e32 vcc, 0, v[3:4]
	v_not_b32_e32 v4, v4
	v_and_b32_e32 v40, exec_hi, v40
	v_ashrrev_i32_e32 v4, 31, v4
	v_and_b32_e32 v40, v40, v42
	v_xor_b32_e32 v42, vcc_hi, v4
	v_xor_b32_e32 v4, vcc_lo, v4
	v_and_b32_e32 v41, v41, v4
	v_lshlrev_b32_e32 v4, 28, v5
	v_cmp_gt_i64_e32 vcc, 0, v[3:4]
	v_not_b32_e32 v4, v4
	v_ashrrev_i32_e32 v4, 31, v4
	v_and_b32_e32 v40, v40, v42
	v_xor_b32_e32 v42, vcc_hi, v4
	v_xor_b32_e32 v4, vcc_lo, v4
	v_and_b32_e32 v41, v41, v4
	v_lshlrev_b32_e32 v4, 27, v5
	v_cmp_gt_i64_e32 vcc, 0, v[3:4]
	v_not_b32_e32 v4, v4
	;; [unrolled: 8-line block ×5, first 2 shown]
	v_ashrrev_i32_e32 v3, 31, v3
	v_xor_b32_e32 v4, vcc_hi, v3
	v_xor_b32_e32 v3, vcc_lo, v3
	ds_read_b32 v38, v39 offset:16
	v_and_b32_e32 v40, v40, v42
	v_and_b32_e32 v3, v41, v3
	;; [unrolled: 1-line block ×3, first 2 shown]
	v_mbcnt_lo_u32_b32 v5, v3, 0
	v_mbcnt_hi_u32_b32 v40, v4, v5
	v_cmp_ne_u64_e32 vcc, 0, v[3:4]
	v_cmp_eq_u32_e64 s[40:41], 0, v40
	s_and_b64 s[42:43], vcc, s[40:41]
	; wave barrier
	s_and_saveexec_b64 s[40:41], s[42:43]
	s_cbranch_execz .LBB24_45
; %bb.44:
	v_bcnt_u32_b32 v3, v3, 0
	v_bcnt_u32_b32 v3, v4, v3
	s_waitcnt lgkmcnt(0)
	v_add_u32_e32 v3, v38, v3
	ds_write_b32 v39, v3 offset:16
.LBB24_45:
	s_or_b64 exec, exec, s[40:41]
	v_lshrrev_b32_e32 v3, s92, v15
	v_and_b32_e32 v5, s94, v3
	v_mul_lo_u32 v3, v5, 20
	v_and_b32_e32 v4, 1, v5
	v_add_co_u32_e32 v43, vcc, -1, v4
	v_addc_co_u32_e64 v44, s[40:41], 0, -1, vcc
	v_cmp_ne_u32_e32 vcc, 0, v4
	v_xor_b32_e32 v4, vcc_hi, v44
	v_lshl_add_u32 v42, v6, 2, v3
	v_mov_b32_e32 v3, 0
	v_and_b32_e32 v44, exec_hi, v4
	v_lshlrev_b32_e32 v4, 30, v5
	v_xor_b32_e32 v43, vcc_lo, v43
	v_cmp_gt_i64_e32 vcc, 0, v[3:4]
	v_not_b32_e32 v4, v4
	v_ashrrev_i32_e32 v4, 31, v4
	v_and_b32_e32 v43, exec_lo, v43
	v_xor_b32_e32 v45, vcc_hi, v4
	v_xor_b32_e32 v4, vcc_lo, v4
	v_and_b32_e32 v43, v43, v4
	v_lshlrev_b32_e32 v4, 29, v5
	v_cmp_gt_i64_e32 vcc, 0, v[3:4]
	v_not_b32_e32 v4, v4
	v_ashrrev_i32_e32 v4, 31, v4
	v_and_b32_e32 v44, v44, v45
	v_xor_b32_e32 v45, vcc_hi, v4
	v_xor_b32_e32 v4, vcc_lo, v4
	v_and_b32_e32 v43, v43, v4
	v_lshlrev_b32_e32 v4, 28, v5
	v_cmp_gt_i64_e32 vcc, 0, v[3:4]
	v_not_b32_e32 v4, v4
	v_ashrrev_i32_e32 v4, 31, v4
	v_and_b32_e32 v44, v44, v45
	;; [unrolled: 8-line block ×5, first 2 shown]
	v_xor_b32_e32 v45, vcc_hi, v4
	v_xor_b32_e32 v4, vcc_lo, v4
	v_and_b32_e32 v43, v43, v4
	v_lshlrev_b32_e32 v4, 24, v5
	v_cmp_gt_i64_e32 vcc, 0, v[3:4]
	v_not_b32_e32 v4, v4
	v_ashrrev_i32_e32 v4, 31, v4
	v_xor_b32_e32 v5, vcc_hi, v4
	v_xor_b32_e32 v4, vcc_lo, v4
	; wave barrier
	ds_read_b32 v41, v42 offset:16
	v_and_b32_e32 v44, v44, v45
	v_and_b32_e32 v4, v43, v4
	v_and_b32_e32 v5, v44, v5
	v_mbcnt_lo_u32_b32 v43, v4, 0
	v_mbcnt_hi_u32_b32 v43, v5, v43
	v_cmp_ne_u64_e32 vcc, 0, v[4:5]
	v_cmp_eq_u32_e64 s[40:41], 0, v43
	s_and_b64 s[42:43], vcc, s[40:41]
	; wave barrier
	s_and_saveexec_b64 s[40:41], s[42:43]
	s_cbranch_execz .LBB24_47
; %bb.46:
	v_bcnt_u32_b32 v4, v4, 0
	v_bcnt_u32_b32 v4, v5, v4
	s_waitcnt lgkmcnt(0)
	v_add_u32_e32 v4, v41, v4
	ds_write_b32 v42, v4 offset:16
.LBB24_47:
	s_or_b64 exec, exec, s[40:41]
	v_lshrrev_b32_e32 v4, s92, v14
	v_and_b32_e32 v5, s94, v4
	v_mul_lo_u32 v4, v5, 20
	v_and_b32_e32 v46, 1, v5
	; wave barrier
	v_lshl_add_u32 v45, v6, 2, v4
	v_add_co_u32_e32 v4, vcc, -1, v46
	v_addc_co_u32_e64 v47, s[40:41], 0, -1, vcc
	v_cmp_ne_u32_e32 vcc, 0, v46
	v_xor_b32_e32 v4, vcc_lo, v4
	v_xor_b32_e32 v46, vcc_hi, v47
	v_and_b32_e32 v47, exec_lo, v4
	v_lshlrev_b32_e32 v4, 30, v5
	v_cmp_gt_i64_e32 vcc, 0, v[3:4]
	v_not_b32_e32 v4, v4
	v_ashrrev_i32_e32 v4, 31, v4
	v_xor_b32_e32 v48, vcc_hi, v4
	v_xor_b32_e32 v4, vcc_lo, v4
	v_and_b32_e32 v47, v47, v4
	v_lshlrev_b32_e32 v4, 29, v5
	v_cmp_gt_i64_e32 vcc, 0, v[3:4]
	v_not_b32_e32 v4, v4
	v_and_b32_e32 v46, exec_hi, v46
	v_ashrrev_i32_e32 v4, 31, v4
	v_and_b32_e32 v46, v46, v48
	v_xor_b32_e32 v48, vcc_hi, v4
	v_xor_b32_e32 v4, vcc_lo, v4
	v_and_b32_e32 v47, v47, v4
	v_lshlrev_b32_e32 v4, 28, v5
	v_cmp_gt_i64_e32 vcc, 0, v[3:4]
	v_not_b32_e32 v4, v4
	v_ashrrev_i32_e32 v4, 31, v4
	v_and_b32_e32 v46, v46, v48
	v_xor_b32_e32 v48, vcc_hi, v4
	v_xor_b32_e32 v4, vcc_lo, v4
	v_and_b32_e32 v47, v47, v4
	v_lshlrev_b32_e32 v4, 27, v5
	v_cmp_gt_i64_e32 vcc, 0, v[3:4]
	v_not_b32_e32 v4, v4
	v_ashrrev_i32_e32 v4, 31, v4
	v_and_b32_e32 v46, v46, v48
	v_xor_b32_e32 v48, vcc_hi, v4
	v_xor_b32_e32 v4, vcc_lo, v4
	v_and_b32_e32 v47, v47, v4
	v_lshlrev_b32_e32 v4, 26, v5
	v_cmp_gt_i64_e32 vcc, 0, v[3:4]
	v_not_b32_e32 v4, v4
	v_ashrrev_i32_e32 v4, 31, v4
	v_and_b32_e32 v46, v46, v48
	v_xor_b32_e32 v48, vcc_hi, v4
	v_xor_b32_e32 v4, vcc_lo, v4
	v_and_b32_e32 v47, v47, v4
	v_lshlrev_b32_e32 v4, 25, v5
	v_cmp_gt_i64_e32 vcc, 0, v[3:4]
	v_not_b32_e32 v4, v4
	v_ashrrev_i32_e32 v4, 31, v4
	v_and_b32_e32 v46, v46, v48
	v_xor_b32_e32 v48, vcc_hi, v4
	v_xor_b32_e32 v4, vcc_lo, v4
	v_and_b32_e32 v47, v47, v4
	v_lshlrev_b32_e32 v4, 24, v5
	v_cmp_gt_i64_e32 vcc, 0, v[3:4]
	v_not_b32_e32 v3, v4
	v_ashrrev_i32_e32 v3, 31, v3
	v_xor_b32_e32 v4, vcc_hi, v3
	v_xor_b32_e32 v3, vcc_lo, v3
	ds_read_b32 v44, v45 offset:16
	v_and_b32_e32 v46, v46, v48
	v_and_b32_e32 v3, v47, v3
	;; [unrolled: 1-line block ×3, first 2 shown]
	v_mbcnt_lo_u32_b32 v5, v3, 0
	v_mbcnt_hi_u32_b32 v46, v4, v5
	v_cmp_ne_u64_e32 vcc, 0, v[3:4]
	v_cmp_eq_u32_e64 s[40:41], 0, v46
	s_and_b64 s[42:43], vcc, s[40:41]
	; wave barrier
	s_and_saveexec_b64 s[40:41], s[42:43]
	s_cbranch_execz .LBB24_49
; %bb.48:
	v_bcnt_u32_b32 v3, v3, 0
	v_bcnt_u32_b32 v3, v4, v3
	s_waitcnt lgkmcnt(0)
	v_add_u32_e32 v3, v44, v3
	ds_write_b32 v45, v3 offset:16
.LBB24_49:
	s_or_b64 exec, exec, s[40:41]
	v_lshrrev_b32_e32 v3, s92, v17
	v_and_b32_e32 v5, s94, v3
	v_mul_lo_u32 v3, v5, 20
	v_and_b32_e32 v4, 1, v5
	v_add_co_u32_e32 v49, vcc, -1, v4
	v_addc_co_u32_e64 v50, s[40:41], 0, -1, vcc
	v_cmp_ne_u32_e32 vcc, 0, v4
	v_xor_b32_e32 v4, vcc_hi, v50
	v_lshl_add_u32 v48, v6, 2, v3
	v_mov_b32_e32 v3, 0
	v_and_b32_e32 v50, exec_hi, v4
	v_lshlrev_b32_e32 v4, 30, v5
	v_xor_b32_e32 v49, vcc_lo, v49
	v_cmp_gt_i64_e32 vcc, 0, v[3:4]
	v_not_b32_e32 v4, v4
	v_ashrrev_i32_e32 v4, 31, v4
	v_and_b32_e32 v49, exec_lo, v49
	v_xor_b32_e32 v51, vcc_hi, v4
	v_xor_b32_e32 v4, vcc_lo, v4
	v_and_b32_e32 v49, v49, v4
	v_lshlrev_b32_e32 v4, 29, v5
	v_cmp_gt_i64_e32 vcc, 0, v[3:4]
	v_not_b32_e32 v4, v4
	v_ashrrev_i32_e32 v4, 31, v4
	v_and_b32_e32 v50, v50, v51
	v_xor_b32_e32 v51, vcc_hi, v4
	v_xor_b32_e32 v4, vcc_lo, v4
	v_and_b32_e32 v49, v49, v4
	v_lshlrev_b32_e32 v4, 28, v5
	v_cmp_gt_i64_e32 vcc, 0, v[3:4]
	v_not_b32_e32 v4, v4
	v_ashrrev_i32_e32 v4, 31, v4
	v_and_b32_e32 v50, v50, v51
	;; [unrolled: 8-line block ×5, first 2 shown]
	v_xor_b32_e32 v51, vcc_hi, v4
	v_xor_b32_e32 v4, vcc_lo, v4
	v_and_b32_e32 v49, v49, v4
	v_lshlrev_b32_e32 v4, 24, v5
	v_cmp_gt_i64_e32 vcc, 0, v[3:4]
	v_not_b32_e32 v4, v4
	v_ashrrev_i32_e32 v4, 31, v4
	v_xor_b32_e32 v5, vcc_hi, v4
	v_xor_b32_e32 v4, vcc_lo, v4
	; wave barrier
	ds_read_b32 v47, v48 offset:16
	v_and_b32_e32 v50, v50, v51
	v_and_b32_e32 v4, v49, v4
	;; [unrolled: 1-line block ×3, first 2 shown]
	v_mbcnt_lo_u32_b32 v49, v4, 0
	v_mbcnt_hi_u32_b32 v49, v5, v49
	v_cmp_ne_u64_e32 vcc, 0, v[4:5]
	v_cmp_eq_u32_e64 s[40:41], 0, v49
	s_and_b64 s[42:43], vcc, s[40:41]
	; wave barrier
	s_and_saveexec_b64 s[40:41], s[42:43]
	s_cbranch_execz .LBB24_51
; %bb.50:
	v_bcnt_u32_b32 v4, v4, 0
	v_bcnt_u32_b32 v4, v5, v4
	s_waitcnt lgkmcnt(0)
	v_add_u32_e32 v4, v47, v4
	ds_write_b32 v48, v4 offset:16
.LBB24_51:
	s_or_b64 exec, exec, s[40:41]
	v_lshrrev_b32_e32 v4, s92, v16
	v_and_b32_e32 v5, s94, v4
	v_mul_lo_u32 v4, v5, 20
	v_and_b32_e32 v52, 1, v5
	; wave barrier
	v_lshl_add_u32 v51, v6, 2, v4
	v_add_co_u32_e32 v4, vcc, -1, v52
	v_addc_co_u32_e64 v53, s[40:41], 0, -1, vcc
	v_cmp_ne_u32_e32 vcc, 0, v52
	v_xor_b32_e32 v4, vcc_lo, v4
	v_xor_b32_e32 v52, vcc_hi, v53
	v_and_b32_e32 v53, exec_lo, v4
	v_lshlrev_b32_e32 v4, 30, v5
	v_cmp_gt_i64_e32 vcc, 0, v[3:4]
	v_not_b32_e32 v4, v4
	v_ashrrev_i32_e32 v4, 31, v4
	v_xor_b32_e32 v54, vcc_hi, v4
	v_xor_b32_e32 v4, vcc_lo, v4
	v_and_b32_e32 v53, v53, v4
	v_lshlrev_b32_e32 v4, 29, v5
	v_cmp_gt_i64_e32 vcc, 0, v[3:4]
	v_not_b32_e32 v4, v4
	v_and_b32_e32 v52, exec_hi, v52
	v_ashrrev_i32_e32 v4, 31, v4
	v_and_b32_e32 v52, v52, v54
	v_xor_b32_e32 v54, vcc_hi, v4
	v_xor_b32_e32 v4, vcc_lo, v4
	v_and_b32_e32 v53, v53, v4
	v_lshlrev_b32_e32 v4, 28, v5
	v_cmp_gt_i64_e32 vcc, 0, v[3:4]
	v_not_b32_e32 v4, v4
	v_ashrrev_i32_e32 v4, 31, v4
	v_and_b32_e32 v52, v52, v54
	v_xor_b32_e32 v54, vcc_hi, v4
	v_xor_b32_e32 v4, vcc_lo, v4
	v_and_b32_e32 v53, v53, v4
	v_lshlrev_b32_e32 v4, 27, v5
	v_cmp_gt_i64_e32 vcc, 0, v[3:4]
	v_not_b32_e32 v4, v4
	;; [unrolled: 8-line block ×5, first 2 shown]
	v_ashrrev_i32_e32 v3, 31, v3
	v_xor_b32_e32 v4, vcc_hi, v3
	v_xor_b32_e32 v3, vcc_lo, v3
	ds_read_b32 v50, v51 offset:16
	v_and_b32_e32 v52, v52, v54
	v_and_b32_e32 v3, v53, v3
	;; [unrolled: 1-line block ×3, first 2 shown]
	v_mbcnt_lo_u32_b32 v5, v3, 0
	v_mbcnt_hi_u32_b32 v52, v4, v5
	v_cmp_ne_u64_e32 vcc, 0, v[3:4]
	v_cmp_eq_u32_e64 s[40:41], 0, v52
	s_and_b64 s[42:43], vcc, s[40:41]
	; wave barrier
	s_and_saveexec_b64 s[40:41], s[42:43]
	s_cbranch_execz .LBB24_53
; %bb.52:
	v_bcnt_u32_b32 v3, v3, 0
	v_bcnt_u32_b32 v3, v4, v3
	s_waitcnt lgkmcnt(0)
	v_add_u32_e32 v3, v50, v3
	ds_write_b32 v51, v3 offset:16
.LBB24_53:
	s_or_b64 exec, exec, s[40:41]
	v_lshrrev_b32_e32 v3, s92, v19
	v_and_b32_e32 v5, s94, v3
	v_mul_lo_u32 v3, v5, 20
	v_and_b32_e32 v4, 1, v5
	v_add_co_u32_e32 v55, vcc, -1, v4
	v_addc_co_u32_e64 v56, s[40:41], 0, -1, vcc
	v_cmp_ne_u32_e32 vcc, 0, v4
	v_xor_b32_e32 v4, vcc_hi, v56
	v_lshl_add_u32 v54, v6, 2, v3
	v_mov_b32_e32 v3, 0
	v_and_b32_e32 v56, exec_hi, v4
	v_lshlrev_b32_e32 v4, 30, v5
	v_xor_b32_e32 v55, vcc_lo, v55
	v_cmp_gt_i64_e32 vcc, 0, v[3:4]
	v_not_b32_e32 v4, v4
	v_ashrrev_i32_e32 v4, 31, v4
	v_and_b32_e32 v55, exec_lo, v55
	v_xor_b32_e32 v57, vcc_hi, v4
	v_xor_b32_e32 v4, vcc_lo, v4
	v_and_b32_e32 v55, v55, v4
	v_lshlrev_b32_e32 v4, 29, v5
	v_cmp_gt_i64_e32 vcc, 0, v[3:4]
	v_not_b32_e32 v4, v4
	v_ashrrev_i32_e32 v4, 31, v4
	v_and_b32_e32 v56, v56, v57
	v_xor_b32_e32 v57, vcc_hi, v4
	v_xor_b32_e32 v4, vcc_lo, v4
	v_and_b32_e32 v55, v55, v4
	v_lshlrev_b32_e32 v4, 28, v5
	v_cmp_gt_i64_e32 vcc, 0, v[3:4]
	v_not_b32_e32 v4, v4
	v_ashrrev_i32_e32 v4, 31, v4
	v_and_b32_e32 v56, v56, v57
	;; [unrolled: 8-line block ×5, first 2 shown]
	v_xor_b32_e32 v57, vcc_hi, v4
	v_xor_b32_e32 v4, vcc_lo, v4
	v_and_b32_e32 v55, v55, v4
	v_lshlrev_b32_e32 v4, 24, v5
	v_cmp_gt_i64_e32 vcc, 0, v[3:4]
	v_not_b32_e32 v4, v4
	v_ashrrev_i32_e32 v4, 31, v4
	v_xor_b32_e32 v5, vcc_hi, v4
	v_xor_b32_e32 v4, vcc_lo, v4
	; wave barrier
	ds_read_b32 v53, v54 offset:16
	v_and_b32_e32 v56, v56, v57
	v_and_b32_e32 v4, v55, v4
	v_and_b32_e32 v5, v56, v5
	v_mbcnt_lo_u32_b32 v55, v4, 0
	v_mbcnt_hi_u32_b32 v55, v5, v55
	v_cmp_ne_u64_e32 vcc, 0, v[4:5]
	v_cmp_eq_u32_e64 s[40:41], 0, v55
	s_and_b64 s[42:43], vcc, s[40:41]
	; wave barrier
	s_and_saveexec_b64 s[40:41], s[42:43]
	s_cbranch_execz .LBB24_55
; %bb.54:
	v_bcnt_u32_b32 v4, v4, 0
	v_bcnt_u32_b32 v4, v5, v4
	s_waitcnt lgkmcnt(0)
	v_add_u32_e32 v4, v53, v4
	ds_write_b32 v54, v4 offset:16
.LBB24_55:
	s_or_b64 exec, exec, s[40:41]
	v_lshrrev_b32_e32 v4, s92, v18
	v_and_b32_e32 v5, s94, v4
	v_mul_lo_u32 v4, v5, 20
	v_and_b32_e32 v58, 1, v5
	; wave barrier
	v_lshl_add_u32 v57, v6, 2, v4
	v_add_co_u32_e32 v4, vcc, -1, v58
	v_addc_co_u32_e64 v59, s[40:41], 0, -1, vcc
	v_cmp_ne_u32_e32 vcc, 0, v58
	v_xor_b32_e32 v4, vcc_lo, v4
	v_xor_b32_e32 v58, vcc_hi, v59
	v_and_b32_e32 v59, exec_lo, v4
	v_lshlrev_b32_e32 v4, 30, v5
	v_cmp_gt_i64_e32 vcc, 0, v[3:4]
	v_not_b32_e32 v4, v4
	v_ashrrev_i32_e32 v4, 31, v4
	v_xor_b32_e32 v60, vcc_hi, v4
	v_xor_b32_e32 v4, vcc_lo, v4
	v_and_b32_e32 v59, v59, v4
	v_lshlrev_b32_e32 v4, 29, v5
	v_cmp_gt_i64_e32 vcc, 0, v[3:4]
	v_not_b32_e32 v4, v4
	v_and_b32_e32 v58, exec_hi, v58
	v_ashrrev_i32_e32 v4, 31, v4
	v_and_b32_e32 v58, v58, v60
	v_xor_b32_e32 v60, vcc_hi, v4
	v_xor_b32_e32 v4, vcc_lo, v4
	v_and_b32_e32 v59, v59, v4
	v_lshlrev_b32_e32 v4, 28, v5
	v_cmp_gt_i64_e32 vcc, 0, v[3:4]
	v_not_b32_e32 v4, v4
	v_ashrrev_i32_e32 v4, 31, v4
	v_and_b32_e32 v58, v58, v60
	v_xor_b32_e32 v60, vcc_hi, v4
	v_xor_b32_e32 v4, vcc_lo, v4
	v_and_b32_e32 v59, v59, v4
	v_lshlrev_b32_e32 v4, 27, v5
	v_cmp_gt_i64_e32 vcc, 0, v[3:4]
	v_not_b32_e32 v4, v4
	;; [unrolled: 8-line block ×5, first 2 shown]
	v_ashrrev_i32_e32 v3, 31, v3
	v_xor_b32_e32 v4, vcc_hi, v3
	v_xor_b32_e32 v3, vcc_lo, v3
	ds_read_b32 v56, v57 offset:16
	v_and_b32_e32 v58, v58, v60
	v_and_b32_e32 v3, v59, v3
	;; [unrolled: 1-line block ×3, first 2 shown]
	v_mbcnt_lo_u32_b32 v5, v3, 0
	v_mbcnt_hi_u32_b32 v58, v4, v5
	v_cmp_ne_u64_e32 vcc, 0, v[3:4]
	v_cmp_eq_u32_e64 s[40:41], 0, v58
	s_and_b64 s[42:43], vcc, s[40:41]
	; wave barrier
	s_and_saveexec_b64 s[40:41], s[42:43]
	s_cbranch_execz .LBB24_57
; %bb.56:
	v_bcnt_u32_b32 v3, v3, 0
	v_bcnt_u32_b32 v3, v4, v3
	s_waitcnt lgkmcnt(0)
	v_add_u32_e32 v3, v56, v3
	ds_write_b32 v57, v3 offset:16
.LBB24_57:
	s_or_b64 exec, exec, s[40:41]
	v_lshrrev_b32_e32 v3, s92, v22
	v_and_b32_e32 v5, s94, v3
	v_mul_lo_u32 v3, v5, 20
	v_and_b32_e32 v4, 1, v5
	v_add_co_u32_e32 v61, vcc, -1, v4
	v_addc_co_u32_e64 v62, s[40:41], 0, -1, vcc
	v_cmp_ne_u32_e32 vcc, 0, v4
	v_xor_b32_e32 v4, vcc_hi, v62
	v_lshl_add_u32 v60, v6, 2, v3
	v_mov_b32_e32 v3, 0
	v_and_b32_e32 v62, exec_hi, v4
	v_lshlrev_b32_e32 v4, 30, v5
	v_xor_b32_e32 v61, vcc_lo, v61
	v_cmp_gt_i64_e32 vcc, 0, v[3:4]
	v_not_b32_e32 v4, v4
	v_ashrrev_i32_e32 v4, 31, v4
	v_and_b32_e32 v61, exec_lo, v61
	v_xor_b32_e32 v63, vcc_hi, v4
	v_xor_b32_e32 v4, vcc_lo, v4
	v_and_b32_e32 v61, v61, v4
	v_lshlrev_b32_e32 v4, 29, v5
	v_cmp_gt_i64_e32 vcc, 0, v[3:4]
	v_not_b32_e32 v4, v4
	v_ashrrev_i32_e32 v4, 31, v4
	v_and_b32_e32 v62, v62, v63
	v_xor_b32_e32 v63, vcc_hi, v4
	v_xor_b32_e32 v4, vcc_lo, v4
	v_and_b32_e32 v61, v61, v4
	v_lshlrev_b32_e32 v4, 28, v5
	v_cmp_gt_i64_e32 vcc, 0, v[3:4]
	v_not_b32_e32 v4, v4
	v_ashrrev_i32_e32 v4, 31, v4
	v_and_b32_e32 v62, v62, v63
	;; [unrolled: 8-line block ×5, first 2 shown]
	v_xor_b32_e32 v63, vcc_hi, v4
	v_xor_b32_e32 v4, vcc_lo, v4
	v_and_b32_e32 v61, v61, v4
	v_lshlrev_b32_e32 v4, 24, v5
	v_cmp_gt_i64_e32 vcc, 0, v[3:4]
	v_not_b32_e32 v4, v4
	v_ashrrev_i32_e32 v4, 31, v4
	v_xor_b32_e32 v5, vcc_hi, v4
	v_xor_b32_e32 v4, vcc_lo, v4
	; wave barrier
	ds_read_b32 v59, v60 offset:16
	v_and_b32_e32 v62, v62, v63
	v_and_b32_e32 v4, v61, v4
	;; [unrolled: 1-line block ×3, first 2 shown]
	v_mbcnt_lo_u32_b32 v61, v4, 0
	v_mbcnt_hi_u32_b32 v61, v5, v61
	v_cmp_ne_u64_e32 vcc, 0, v[4:5]
	v_cmp_eq_u32_e64 s[40:41], 0, v61
	s_and_b64 s[42:43], vcc, s[40:41]
	; wave barrier
	s_and_saveexec_b64 s[40:41], s[42:43]
	s_cbranch_execz .LBB24_59
; %bb.58:
	v_bcnt_u32_b32 v4, v4, 0
	v_bcnt_u32_b32 v4, v5, v4
	s_waitcnt lgkmcnt(0)
	v_add_u32_e32 v4, v59, v4
	ds_write_b32 v60, v4 offset:16
.LBB24_59:
	s_or_b64 exec, exec, s[40:41]
	v_lshrrev_b32_e32 v4, s92, v21
	v_and_b32_e32 v5, s94, v4
	v_mul_lo_u32 v4, v5, 20
	v_and_b32_e32 v64, 1, v5
	; wave barrier
	v_lshl_add_u32 v63, v6, 2, v4
	v_add_co_u32_e32 v4, vcc, -1, v64
	v_addc_co_u32_e64 v65, s[40:41], 0, -1, vcc
	v_cmp_ne_u32_e32 vcc, 0, v64
	v_xor_b32_e32 v4, vcc_lo, v4
	v_xor_b32_e32 v64, vcc_hi, v65
	v_and_b32_e32 v65, exec_lo, v4
	v_lshlrev_b32_e32 v4, 30, v5
	v_cmp_gt_i64_e32 vcc, 0, v[3:4]
	v_not_b32_e32 v4, v4
	v_ashrrev_i32_e32 v4, 31, v4
	v_xor_b32_e32 v66, vcc_hi, v4
	v_xor_b32_e32 v4, vcc_lo, v4
	v_and_b32_e32 v65, v65, v4
	v_lshlrev_b32_e32 v4, 29, v5
	v_cmp_gt_i64_e32 vcc, 0, v[3:4]
	v_not_b32_e32 v4, v4
	v_and_b32_e32 v64, exec_hi, v64
	v_ashrrev_i32_e32 v4, 31, v4
	v_and_b32_e32 v64, v64, v66
	v_xor_b32_e32 v66, vcc_hi, v4
	v_xor_b32_e32 v4, vcc_lo, v4
	v_and_b32_e32 v65, v65, v4
	v_lshlrev_b32_e32 v4, 28, v5
	v_cmp_gt_i64_e32 vcc, 0, v[3:4]
	v_not_b32_e32 v4, v4
	v_ashrrev_i32_e32 v4, 31, v4
	v_and_b32_e32 v64, v64, v66
	v_xor_b32_e32 v66, vcc_hi, v4
	v_xor_b32_e32 v4, vcc_lo, v4
	v_and_b32_e32 v65, v65, v4
	v_lshlrev_b32_e32 v4, 27, v5
	v_cmp_gt_i64_e32 vcc, 0, v[3:4]
	v_not_b32_e32 v4, v4
	;; [unrolled: 8-line block ×5, first 2 shown]
	v_ashrrev_i32_e32 v3, 31, v3
	v_xor_b32_e32 v4, vcc_hi, v3
	v_xor_b32_e32 v3, vcc_lo, v3
	ds_read_b32 v62, v63 offset:16
	v_and_b32_e32 v64, v64, v66
	v_and_b32_e32 v3, v65, v3
	;; [unrolled: 1-line block ×3, first 2 shown]
	v_mbcnt_lo_u32_b32 v5, v3, 0
	v_mbcnt_hi_u32_b32 v64, v4, v5
	v_cmp_ne_u64_e32 vcc, 0, v[3:4]
	v_cmp_eq_u32_e64 s[40:41], 0, v64
	s_and_b64 s[42:43], vcc, s[40:41]
	; wave barrier
	s_and_saveexec_b64 s[40:41], s[42:43]
	s_cbranch_execz .LBB24_61
; %bb.60:
	v_bcnt_u32_b32 v3, v3, 0
	v_bcnt_u32_b32 v3, v4, v3
	s_waitcnt lgkmcnt(0)
	v_add_u32_e32 v3, v62, v3
	ds_write_b32 v63, v3 offset:16
.LBB24_61:
	s_or_b64 exec, exec, s[40:41]
	v_lshrrev_b32_e32 v3, s92, v24
	v_and_b32_e32 v5, s94, v3
	v_mul_lo_u32 v3, v5, 20
	v_and_b32_e32 v4, 1, v5
	v_add_co_u32_e32 v67, vcc, -1, v4
	v_addc_co_u32_e64 v68, s[40:41], 0, -1, vcc
	v_cmp_ne_u32_e32 vcc, 0, v4
	v_xor_b32_e32 v4, vcc_hi, v68
	v_lshl_add_u32 v66, v6, 2, v3
	v_mov_b32_e32 v3, 0
	v_and_b32_e32 v68, exec_hi, v4
	v_lshlrev_b32_e32 v4, 30, v5
	v_xor_b32_e32 v67, vcc_lo, v67
	v_cmp_gt_i64_e32 vcc, 0, v[3:4]
	v_not_b32_e32 v4, v4
	v_ashrrev_i32_e32 v4, 31, v4
	v_and_b32_e32 v67, exec_lo, v67
	v_xor_b32_e32 v69, vcc_hi, v4
	v_xor_b32_e32 v4, vcc_lo, v4
	v_and_b32_e32 v67, v67, v4
	v_lshlrev_b32_e32 v4, 29, v5
	v_cmp_gt_i64_e32 vcc, 0, v[3:4]
	v_not_b32_e32 v4, v4
	v_ashrrev_i32_e32 v4, 31, v4
	v_and_b32_e32 v68, v68, v69
	v_xor_b32_e32 v69, vcc_hi, v4
	v_xor_b32_e32 v4, vcc_lo, v4
	v_and_b32_e32 v67, v67, v4
	v_lshlrev_b32_e32 v4, 28, v5
	v_cmp_gt_i64_e32 vcc, 0, v[3:4]
	v_not_b32_e32 v4, v4
	v_ashrrev_i32_e32 v4, 31, v4
	v_and_b32_e32 v68, v68, v69
	;; [unrolled: 8-line block ×5, first 2 shown]
	v_xor_b32_e32 v69, vcc_hi, v4
	v_xor_b32_e32 v4, vcc_lo, v4
	v_and_b32_e32 v67, v67, v4
	v_lshlrev_b32_e32 v4, 24, v5
	v_cmp_gt_i64_e32 vcc, 0, v[3:4]
	v_not_b32_e32 v4, v4
	v_ashrrev_i32_e32 v4, 31, v4
	v_xor_b32_e32 v5, vcc_hi, v4
	v_xor_b32_e32 v4, vcc_lo, v4
	; wave barrier
	ds_read_b32 v65, v66 offset:16
	v_and_b32_e32 v68, v68, v69
	v_and_b32_e32 v4, v67, v4
	;; [unrolled: 1-line block ×3, first 2 shown]
	v_mbcnt_lo_u32_b32 v67, v4, 0
	v_mbcnt_hi_u32_b32 v67, v5, v67
	v_cmp_ne_u64_e32 vcc, 0, v[4:5]
	v_cmp_eq_u32_e64 s[40:41], 0, v67
	s_and_b64 s[42:43], vcc, s[40:41]
	; wave barrier
	s_and_saveexec_b64 s[40:41], s[42:43]
	s_cbranch_execz .LBB24_63
; %bb.62:
	v_bcnt_u32_b32 v4, v4, 0
	v_bcnt_u32_b32 v4, v5, v4
	s_waitcnt lgkmcnt(0)
	v_add_u32_e32 v4, v65, v4
	ds_write_b32 v66, v4 offset:16
.LBB24_63:
	s_or_b64 exec, exec, s[40:41]
	v_lshrrev_b32_e32 v4, s92, v23
	v_and_b32_e32 v5, s94, v4
	v_mul_lo_u32 v4, v5, 20
	v_and_b32_e32 v70, 1, v5
	; wave barrier
	v_lshl_add_u32 v69, v6, 2, v4
	v_add_co_u32_e32 v4, vcc, -1, v70
	v_addc_co_u32_e64 v71, s[40:41], 0, -1, vcc
	v_cmp_ne_u32_e32 vcc, 0, v70
	v_xor_b32_e32 v4, vcc_lo, v4
	v_xor_b32_e32 v70, vcc_hi, v71
	v_and_b32_e32 v71, exec_lo, v4
	v_lshlrev_b32_e32 v4, 30, v5
	v_cmp_gt_i64_e32 vcc, 0, v[3:4]
	v_not_b32_e32 v4, v4
	v_ashrrev_i32_e32 v4, 31, v4
	v_xor_b32_e32 v72, vcc_hi, v4
	v_xor_b32_e32 v4, vcc_lo, v4
	v_and_b32_e32 v71, v71, v4
	v_lshlrev_b32_e32 v4, 29, v5
	v_cmp_gt_i64_e32 vcc, 0, v[3:4]
	v_not_b32_e32 v4, v4
	v_and_b32_e32 v70, exec_hi, v70
	v_ashrrev_i32_e32 v4, 31, v4
	v_and_b32_e32 v70, v70, v72
	v_xor_b32_e32 v72, vcc_hi, v4
	v_xor_b32_e32 v4, vcc_lo, v4
	v_and_b32_e32 v71, v71, v4
	v_lshlrev_b32_e32 v4, 28, v5
	v_cmp_gt_i64_e32 vcc, 0, v[3:4]
	v_not_b32_e32 v4, v4
	v_ashrrev_i32_e32 v4, 31, v4
	v_and_b32_e32 v70, v70, v72
	v_xor_b32_e32 v72, vcc_hi, v4
	v_xor_b32_e32 v4, vcc_lo, v4
	v_and_b32_e32 v71, v71, v4
	v_lshlrev_b32_e32 v4, 27, v5
	v_cmp_gt_i64_e32 vcc, 0, v[3:4]
	v_not_b32_e32 v4, v4
	;; [unrolled: 8-line block ×5, first 2 shown]
	v_ashrrev_i32_e32 v3, 31, v3
	v_xor_b32_e32 v4, vcc_hi, v3
	v_xor_b32_e32 v3, vcc_lo, v3
	ds_read_b32 v68, v69 offset:16
	v_and_b32_e32 v70, v70, v72
	v_and_b32_e32 v3, v71, v3
	;; [unrolled: 1-line block ×3, first 2 shown]
	v_mbcnt_lo_u32_b32 v5, v3, 0
	v_mbcnt_hi_u32_b32 v70, v4, v5
	v_cmp_ne_u64_e32 vcc, 0, v[3:4]
	v_cmp_eq_u32_e64 s[40:41], 0, v70
	s_and_b64 s[42:43], vcc, s[40:41]
	; wave barrier
	s_and_saveexec_b64 s[40:41], s[42:43]
	s_cbranch_execz .LBB24_65
; %bb.64:
	v_bcnt_u32_b32 v3, v3, 0
	v_bcnt_u32_b32 v3, v4, v3
	s_waitcnt lgkmcnt(0)
	v_add_u32_e32 v3, v68, v3
	ds_write_b32 v69, v3 offset:16
.LBB24_65:
	s_or_b64 exec, exec, s[40:41]
	v_lshrrev_b32_e32 v3, s92, v26
	v_and_b32_e32 v5, s94, v3
	v_mul_lo_u32 v3, v5, 20
	v_and_b32_e32 v4, 1, v5
	v_add_co_u32_e32 v73, vcc, -1, v4
	v_addc_co_u32_e64 v74, s[40:41], 0, -1, vcc
	v_cmp_ne_u32_e32 vcc, 0, v4
	v_xor_b32_e32 v4, vcc_hi, v74
	v_lshl_add_u32 v72, v6, 2, v3
	v_mov_b32_e32 v3, 0
	v_and_b32_e32 v74, exec_hi, v4
	v_lshlrev_b32_e32 v4, 30, v5
	v_xor_b32_e32 v73, vcc_lo, v73
	v_cmp_gt_i64_e32 vcc, 0, v[3:4]
	v_not_b32_e32 v4, v4
	v_ashrrev_i32_e32 v4, 31, v4
	v_and_b32_e32 v73, exec_lo, v73
	v_xor_b32_e32 v75, vcc_hi, v4
	v_xor_b32_e32 v4, vcc_lo, v4
	v_and_b32_e32 v73, v73, v4
	v_lshlrev_b32_e32 v4, 29, v5
	v_cmp_gt_i64_e32 vcc, 0, v[3:4]
	v_not_b32_e32 v4, v4
	v_ashrrev_i32_e32 v4, 31, v4
	v_and_b32_e32 v74, v74, v75
	v_xor_b32_e32 v75, vcc_hi, v4
	v_xor_b32_e32 v4, vcc_lo, v4
	v_and_b32_e32 v73, v73, v4
	v_lshlrev_b32_e32 v4, 28, v5
	v_cmp_gt_i64_e32 vcc, 0, v[3:4]
	v_not_b32_e32 v4, v4
	v_ashrrev_i32_e32 v4, 31, v4
	v_and_b32_e32 v74, v74, v75
	;; [unrolled: 8-line block ×5, first 2 shown]
	v_xor_b32_e32 v75, vcc_hi, v4
	v_xor_b32_e32 v4, vcc_lo, v4
	v_and_b32_e32 v73, v73, v4
	v_lshlrev_b32_e32 v4, 24, v5
	v_cmp_gt_i64_e32 vcc, 0, v[3:4]
	v_not_b32_e32 v4, v4
	v_ashrrev_i32_e32 v4, 31, v4
	v_xor_b32_e32 v5, vcc_hi, v4
	v_xor_b32_e32 v4, vcc_lo, v4
	; wave barrier
	ds_read_b32 v71, v72 offset:16
	v_and_b32_e32 v74, v74, v75
	v_and_b32_e32 v4, v73, v4
	v_and_b32_e32 v5, v74, v5
	v_mbcnt_lo_u32_b32 v73, v4, 0
	v_mbcnt_hi_u32_b32 v73, v5, v73
	v_cmp_ne_u64_e32 vcc, 0, v[4:5]
	v_cmp_eq_u32_e64 s[40:41], 0, v73
	s_and_b64 s[42:43], vcc, s[40:41]
	; wave barrier
	s_and_saveexec_b64 s[40:41], s[42:43]
	s_cbranch_execz .LBB24_67
; %bb.66:
	v_bcnt_u32_b32 v4, v4, 0
	v_bcnt_u32_b32 v4, v5, v4
	s_waitcnt lgkmcnt(0)
	v_add_u32_e32 v4, v71, v4
	ds_write_b32 v72, v4 offset:16
.LBB24_67:
	s_or_b64 exec, exec, s[40:41]
	v_lshrrev_b32_e32 v4, s92, v25
	v_and_b32_e32 v5, s94, v4
	v_mul_lo_u32 v4, v5, 20
	v_and_b32_e32 v76, 1, v5
	; wave barrier
	v_lshl_add_u32 v75, v6, 2, v4
	v_add_co_u32_e32 v4, vcc, -1, v76
	v_addc_co_u32_e64 v77, s[40:41], 0, -1, vcc
	v_cmp_ne_u32_e32 vcc, 0, v76
	v_xor_b32_e32 v4, vcc_lo, v4
	v_xor_b32_e32 v76, vcc_hi, v77
	v_and_b32_e32 v77, exec_lo, v4
	v_lshlrev_b32_e32 v4, 30, v5
	v_cmp_gt_i64_e32 vcc, 0, v[3:4]
	v_not_b32_e32 v4, v4
	v_ashrrev_i32_e32 v4, 31, v4
	v_xor_b32_e32 v78, vcc_hi, v4
	v_xor_b32_e32 v4, vcc_lo, v4
	v_and_b32_e32 v77, v77, v4
	v_lshlrev_b32_e32 v4, 29, v5
	v_cmp_gt_i64_e32 vcc, 0, v[3:4]
	v_not_b32_e32 v4, v4
	v_and_b32_e32 v76, exec_hi, v76
	v_ashrrev_i32_e32 v4, 31, v4
	v_and_b32_e32 v76, v76, v78
	v_xor_b32_e32 v78, vcc_hi, v4
	v_xor_b32_e32 v4, vcc_lo, v4
	v_and_b32_e32 v77, v77, v4
	v_lshlrev_b32_e32 v4, 28, v5
	v_cmp_gt_i64_e32 vcc, 0, v[3:4]
	v_not_b32_e32 v4, v4
	v_ashrrev_i32_e32 v4, 31, v4
	v_and_b32_e32 v76, v76, v78
	v_xor_b32_e32 v78, vcc_hi, v4
	v_xor_b32_e32 v4, vcc_lo, v4
	v_and_b32_e32 v77, v77, v4
	v_lshlrev_b32_e32 v4, 27, v5
	v_cmp_gt_i64_e32 vcc, 0, v[3:4]
	v_not_b32_e32 v4, v4
	;; [unrolled: 8-line block ×5, first 2 shown]
	v_ashrrev_i32_e32 v3, 31, v3
	v_xor_b32_e32 v4, vcc_hi, v3
	v_xor_b32_e32 v3, vcc_lo, v3
	ds_read_b32 v74, v75 offset:16
	v_and_b32_e32 v76, v76, v78
	v_and_b32_e32 v3, v77, v3
	v_and_b32_e32 v4, v76, v4
	v_mbcnt_lo_u32_b32 v5, v3, 0
	v_mbcnt_hi_u32_b32 v76, v4, v5
	v_cmp_ne_u64_e32 vcc, 0, v[3:4]
	v_cmp_eq_u32_e64 s[40:41], 0, v76
	s_and_b64 s[42:43], vcc, s[40:41]
	; wave barrier
	s_and_saveexec_b64 s[40:41], s[42:43]
	s_cbranch_execz .LBB24_69
; %bb.68:
	v_bcnt_u32_b32 v3, v3, 0
	v_bcnt_u32_b32 v3, v4, v3
	s_waitcnt lgkmcnt(0)
	v_add_u32_e32 v3, v74, v3
	ds_write_b32 v75, v3 offset:16
.LBB24_69:
	s_or_b64 exec, exec, s[40:41]
	v_lshrrev_b32_e32 v3, s92, v28
	v_and_b32_e32 v5, s94, v3
	v_mul_lo_u32 v3, v5, 20
	v_and_b32_e32 v4, 1, v5
	v_add_co_u32_e32 v79, vcc, -1, v4
	v_addc_co_u32_e64 v80, s[40:41], 0, -1, vcc
	v_cmp_ne_u32_e32 vcc, 0, v4
	v_xor_b32_e32 v4, vcc_hi, v80
	v_lshl_add_u32 v78, v6, 2, v3
	v_mov_b32_e32 v3, 0
	v_and_b32_e32 v80, exec_hi, v4
	v_lshlrev_b32_e32 v4, 30, v5
	v_xor_b32_e32 v79, vcc_lo, v79
	v_cmp_gt_i64_e32 vcc, 0, v[3:4]
	v_not_b32_e32 v4, v4
	v_ashrrev_i32_e32 v4, 31, v4
	v_and_b32_e32 v79, exec_lo, v79
	v_xor_b32_e32 v81, vcc_hi, v4
	v_xor_b32_e32 v4, vcc_lo, v4
	v_and_b32_e32 v79, v79, v4
	v_lshlrev_b32_e32 v4, 29, v5
	v_cmp_gt_i64_e32 vcc, 0, v[3:4]
	v_not_b32_e32 v4, v4
	v_ashrrev_i32_e32 v4, 31, v4
	v_and_b32_e32 v80, v80, v81
	v_xor_b32_e32 v81, vcc_hi, v4
	v_xor_b32_e32 v4, vcc_lo, v4
	v_and_b32_e32 v79, v79, v4
	v_lshlrev_b32_e32 v4, 28, v5
	v_cmp_gt_i64_e32 vcc, 0, v[3:4]
	v_not_b32_e32 v4, v4
	v_ashrrev_i32_e32 v4, 31, v4
	v_and_b32_e32 v80, v80, v81
	;; [unrolled: 8-line block ×5, first 2 shown]
	v_xor_b32_e32 v81, vcc_hi, v4
	v_xor_b32_e32 v4, vcc_lo, v4
	v_and_b32_e32 v79, v79, v4
	v_lshlrev_b32_e32 v4, 24, v5
	v_cmp_gt_i64_e32 vcc, 0, v[3:4]
	v_not_b32_e32 v4, v4
	v_ashrrev_i32_e32 v4, 31, v4
	v_xor_b32_e32 v5, vcc_hi, v4
	v_xor_b32_e32 v4, vcc_lo, v4
	; wave barrier
	ds_read_b32 v77, v78 offset:16
	v_and_b32_e32 v80, v80, v81
	v_and_b32_e32 v4, v79, v4
	;; [unrolled: 1-line block ×3, first 2 shown]
	v_mbcnt_lo_u32_b32 v79, v4, 0
	v_mbcnt_hi_u32_b32 v79, v5, v79
	v_cmp_ne_u64_e32 vcc, 0, v[4:5]
	v_cmp_eq_u32_e64 s[40:41], 0, v79
	s_and_b64 s[42:43], vcc, s[40:41]
	; wave barrier
	s_and_saveexec_b64 s[40:41], s[42:43]
	s_cbranch_execz .LBB24_71
; %bb.70:
	v_bcnt_u32_b32 v4, v4, 0
	v_bcnt_u32_b32 v4, v5, v4
	s_waitcnt lgkmcnt(0)
	v_add_u32_e32 v4, v77, v4
	ds_write_b32 v78, v4 offset:16
.LBB24_71:
	s_or_b64 exec, exec, s[40:41]
	v_lshrrev_b32_e32 v4, s92, v27
	v_and_b32_e32 v5, s94, v4
	v_mul_lo_u32 v4, v5, 20
	v_and_b32_e32 v82, 1, v5
	; wave barrier
	v_lshl_add_u32 v81, v6, 2, v4
	v_add_co_u32_e32 v4, vcc, -1, v82
	v_addc_co_u32_e64 v6, s[40:41], 0, -1, vcc
	v_cmp_ne_u32_e32 vcc, 0, v82
	v_xor_b32_e32 v4, vcc_lo, v4
	v_and_b32_e32 v82, exec_lo, v4
	v_lshlrev_b32_e32 v4, 30, v5
	v_xor_b32_e32 v6, vcc_hi, v6
	v_cmp_gt_i64_e32 vcc, 0, v[3:4]
	v_not_b32_e32 v4, v4
	v_ashrrev_i32_e32 v4, 31, v4
	v_xor_b32_e32 v83, vcc_hi, v4
	v_xor_b32_e32 v4, vcc_lo, v4
	v_and_b32_e32 v82, v82, v4
	v_lshlrev_b32_e32 v4, 29, v5
	v_cmp_gt_i64_e32 vcc, 0, v[3:4]
	v_not_b32_e32 v4, v4
	v_and_b32_e32 v6, exec_hi, v6
	v_ashrrev_i32_e32 v4, 31, v4
	v_and_b32_e32 v6, v6, v83
	v_xor_b32_e32 v83, vcc_hi, v4
	v_xor_b32_e32 v4, vcc_lo, v4
	v_and_b32_e32 v82, v82, v4
	v_lshlrev_b32_e32 v4, 28, v5
	v_cmp_gt_i64_e32 vcc, 0, v[3:4]
	v_not_b32_e32 v4, v4
	v_ashrrev_i32_e32 v4, 31, v4
	v_and_b32_e32 v6, v6, v83
	v_xor_b32_e32 v83, vcc_hi, v4
	v_xor_b32_e32 v4, vcc_lo, v4
	v_and_b32_e32 v82, v82, v4
	v_lshlrev_b32_e32 v4, 27, v5
	v_cmp_gt_i64_e32 vcc, 0, v[3:4]
	v_not_b32_e32 v4, v4
	;; [unrolled: 8-line block ×5, first 2 shown]
	v_ashrrev_i32_e32 v3, 31, v3
	v_xor_b32_e32 v4, vcc_hi, v3
	v_xor_b32_e32 v3, vcc_lo, v3
	ds_read_b32 v80, v81 offset:16
	v_and_b32_e32 v6, v6, v83
	v_and_b32_e32 v3, v82, v3
	;; [unrolled: 1-line block ×3, first 2 shown]
	v_mbcnt_lo_u32_b32 v5, v3, 0
	v_mbcnt_hi_u32_b32 v82, v4, v5
	v_cmp_ne_u64_e32 vcc, 0, v[3:4]
	v_cmp_eq_u32_e64 s[40:41], 0, v82
	s_and_b64 s[42:43], vcc, s[40:41]
	; wave barrier
	s_and_saveexec_b64 s[40:41], s[42:43]
	s_cbranch_execz .LBB24_73
; %bb.72:
	v_bcnt_u32_b32 v3, v3, 0
	v_bcnt_u32_b32 v3, v4, v3
	s_waitcnt lgkmcnt(0)
	v_add_u32_e32 v3, v80, v3
	ds_write_b32 v81, v3 offset:16
.LBB24_73:
	s_or_b64 exec, exec, s[40:41]
	; wave barrier
	s_waitcnt lgkmcnt(0)
	s_barrier
	ds_read2_b32 v[5:6], v29 offset0:4 offset1:5
	ds_read2_b32 v[3:4], v29 offset0:6 offset1:7
	ds_read_b32 v83, v29 offset:32
	v_min_u32_e32 v20, 0xc0, v20
	v_or_b32_e32 v20, 63, v20
	s_waitcnt lgkmcnt(1)
	v_add3_u32 v84, v6, v5, v3
	s_waitcnt lgkmcnt(0)
	v_add3_u32 v83, v84, v4, v83
	v_and_b32_e32 v84, 15, v11
	v_cmp_ne_u32_e32 vcc, 0, v84
	v_mov_b32_dpp v85, v83 row_shr:1 row_mask:0xf bank_mask:0xf
	v_cndmask_b32_e32 v85, 0, v85, vcc
	v_add_u32_e32 v83, v85, v83
	v_cmp_lt_u32_e32 vcc, 1, v84
	s_nop 0
	v_mov_b32_dpp v85, v83 row_shr:2 row_mask:0xf bank_mask:0xf
	v_cndmask_b32_e32 v85, 0, v85, vcc
	v_add_u32_e32 v83, v83, v85
	v_cmp_lt_u32_e32 vcc, 3, v84
	s_nop 0
	;; [unrolled: 5-line block ×3, first 2 shown]
	v_mov_b32_dpp v85, v83 row_shr:8 row_mask:0xf bank_mask:0xf
	v_cndmask_b32_e32 v84, 0, v85, vcc
	v_add_u32_e32 v83, v83, v84
	v_bfe_i32 v85, v11, 4, 1
	v_cmp_lt_u32_e32 vcc, 31, v11
	v_mov_b32_dpp v84, v83 row_bcast:15 row_mask:0xf bank_mask:0xf
	v_and_b32_e32 v84, v85, v84
	v_add_u32_e32 v83, v83, v84
	s_nop 1
	v_mov_b32_dpp v84, v83 row_bcast:31 row_mask:0xf bank_mask:0xf
	v_cndmask_b32_e32 v84, 0, v84, vcc
	v_add_u32_e32 v83, v83, v84
	v_lshrrev_b32_e32 v84, 6, v0
	v_cmp_eq_u32_e32 vcc, v0, v20
	s_and_saveexec_b64 s[40:41], vcc
; %bb.74:
	v_lshlrev_b32_e32 v20, 2, v84
	ds_write_b32 v20, v83
; %bb.75:
	s_or_b64 exec, exec, s[40:41]
	v_cmp_gt_u32_e32 vcc, 4, v0
	s_waitcnt lgkmcnt(0)
	s_barrier
	s_and_saveexec_b64 s[40:41], vcc
	s_cbranch_execz .LBB24_77
; %bb.76:
	v_lshlrev_b32_e32 v20, 2, v0
	ds_read_b32 v85, v20
	v_and_b32_e32 v86, 3, v11
	v_cmp_ne_u32_e32 vcc, 0, v86
	s_waitcnt lgkmcnt(0)
	v_mov_b32_dpp v87, v85 row_shr:1 row_mask:0xf bank_mask:0xf
	v_cndmask_b32_e32 v87, 0, v87, vcc
	v_add_u32_e32 v85, v87, v85
	v_cmp_lt_u32_e32 vcc, 1, v86
	s_nop 0
	v_mov_b32_dpp v87, v85 row_shr:2 row_mask:0xf bank_mask:0xf
	v_cndmask_b32_e32 v86, 0, v87, vcc
	v_add_u32_e32 v85, v85, v86
	ds_write_b32 v20, v85
.LBB24_77:
	s_or_b64 exec, exec, s[40:41]
	v_cmp_lt_u32_e32 vcc, 63, v0
	v_mov_b32_e32 v20, 0
	s_waitcnt lgkmcnt(0)
	s_barrier
	s_and_saveexec_b64 s[40:41], vcc
; %bb.78:
	v_lshl_add_u32 v20, v84, 2, -4
	ds_read_b32 v20, v20
; %bb.79:
	s_or_b64 exec, exec, s[40:41]
	v_add_u32_e32 v84, -1, v11
	v_and_b32_e32 v85, 64, v11
	v_cmp_lt_i32_e32 vcc, v84, v85
	v_cndmask_b32_e32 v84, v84, v11, vcc
	s_waitcnt lgkmcnt(0)
	v_add_u32_e32 v83, v20, v83
	v_lshlrev_b32_e32 v84, 2, v84
	ds_bpermute_b32 v83, v84, v83
	v_cmp_eq_u32_e32 vcc, 0, v11
	s_movk_i32 s40, 0x100
	s_waitcnt lgkmcnt(0)
	v_cndmask_b32_e32 v20, v83, v20, vcc
	v_cmp_ne_u32_e32 vcc, 0, v0
	v_cndmask_b32_e32 v20, 0, v20, vcc
	v_add_u32_e32 v5, v20, v5
	v_add_u32_e32 v6, v5, v6
	;; [unrolled: 1-line block ×4, first 2 shown]
	ds_write2_b32 v29, v20, v5 offset0:4 offset1:5
	ds_write2_b32 v29, v6, v3 offset0:6 offset1:7
	ds_write_b32 v29, v4 offset:32
	s_waitcnt lgkmcnt(0)
	s_barrier
	ds_read_b32 v4, v51 offset:16
	ds_read_b32 v5, v54 offset:16
	;; [unrolled: 1-line block ×19, first 2 shown]
	v_add_u32_e32 v29, 1, v0
	v_cmp_ne_u32_e32 vcc, s40, v29
	v_mov_b32_e32 v3, 0x1200
	s_and_saveexec_b64 s[40:41], vcc
; %bb.80:
	v_mul_u32_u24_e32 v3, 20, v29
	ds_read_b32 v3, v3 offset:16
; %bb.81:
	s_or_b64 exec, exec, s[40:41]
	s_waitcnt lgkmcnt(7)
	v_add_u32_e32 v54, v31, v30
	s_waitcnt lgkmcnt(6)
	v_add3_u32 v51, v34, v32, v33
	s_waitcnt lgkmcnt(4)
	v_add3_u32 v45, v40, v38, v39
	v_add3_u32 v39, v52, v50, v4
	v_lshlrev_b32_e32 v4, 2, v54
	v_add3_u32 v48, v37, v35, v36
	s_waitcnt lgkmcnt(0)
	s_barrier
	ds_write_b32 v4, v8 offset:2048
	v_lshlrev_b32_e32 v4, 2, v51
	ds_write_b32 v4, v7 offset:2048
	v_lshlrev_b32_e32 v4, 2, v48
	v_add3_u32 v42, v43, v41, v42
	ds_write_b32 v4, v13 offset:2048
	v_lshlrev_b32_e32 v4, 2, v45
	v_add3_u32 v41, v46, v44, v81
	;; [unrolled: 3-line block ×3, first 2 shown]
	ds_write_b32 v4, v15 offset:2048
	v_lshlrev_b32_e32 v4, 2, v41
	ds_write_b32 v4, v14 offset:2048
	v_lshlrev_b32_e32 v4, 2, v40
	v_add3_u32 v38, v55, v53, v5
	ds_write_b32 v4, v17 offset:2048
	v_lshlrev_b32_e32 v4, 2, v39
	v_add3_u32 v37, v58, v56, v6
	;; [unrolled: 3-line block ×10, first 2 shown]
	ds_write_b32 v4, v25 offset:2048
	v_lshlrev_b32_e32 v4, 2, v30
	ds_write_b32 v4, v28 offset:2048
	v_lshlrev_b32_e32 v4, 2, v29
	ds_write_b32 v4, v27 offset:2048
	v_sub_u32_e32 v12, v3, v20
	v_lshl_or_b32 v3, s6, 8, v0
	v_mov_b32_e32 v4, 0
	v_lshlrev_b64 v[5:6], 2, v[3:4]
	v_mov_b32_e32 v13, s89
	v_add_co_u32_e32 v5, vcc, s88, v5
	v_addc_co_u32_e32 v6, vcc, v13, v6, vcc
	v_or_b32_e32 v3, 2.0, v12
	s_mov_b64 s[40:41], 0
	s_brev_b32 s46, -4
	s_mov_b32 s47, s7
	v_mov_b32_e32 v14, 0
	s_waitcnt lgkmcnt(0)
	s_barrier
	global_store_dword v[5:6], v3, off
                                        ; implicit-def: $sgpr42_sgpr43
	s_branch .LBB24_84
.LBB24_82:                              ;   in Loop: Header=BB24_84 Depth=1
	s_or_b64 exec, exec, s[44:45]
.LBB24_83:                              ;   in Loop: Header=BB24_84 Depth=1
	s_or_b64 exec, exec, s[42:43]
	v_and_b32_e32 v7, 0x3fffffff, v3
	v_add_u32_e32 v14, v7, v14
	v_cmp_gt_i32_e64 s[42:43], -2.0, v3
	s_and_b64 s[44:45], exec, s[42:43]
	s_or_b64 s[40:41], s[44:45], s[40:41]
	s_andn2_b64 exec, exec, s[40:41]
	s_cbranch_execz .LBB24_89
.LBB24_84:                              ; =>This Loop Header: Depth=1
                                        ;     Child Loop BB24_87 Depth 2
	s_or_b64 s[42:43], s[42:43], exec
	s_cmp_eq_u32 s47, 0
	s_cbranch_scc1 .LBB24_88
; %bb.85:                               ;   in Loop: Header=BB24_84 Depth=1
	s_add_i32 s47, s47, -1
	v_lshl_or_b32 v3, s47, 8, v0
	v_lshlrev_b64 v[7:8], 2, v[3:4]
	v_add_co_u32_e32 v7, vcc, s88, v7
	v_addc_co_u32_e32 v8, vcc, v13, v8, vcc
	global_load_dword v3, v[7:8], off glc
	s_waitcnt vmcnt(0)
	v_cmp_gt_u32_e32 vcc, 2.0, v3
	s_and_saveexec_b64 s[42:43], vcc
	s_cbranch_execz .LBB24_83
; %bb.86:                               ;   in Loop: Header=BB24_84 Depth=1
	s_mov_b64 s[44:45], 0
.LBB24_87:                              ;   Parent Loop BB24_84 Depth=1
                                        ; =>  This Inner Loop Header: Depth=2
	global_load_dword v3, v[7:8], off glc
	s_waitcnt vmcnt(0)
	v_cmp_lt_u32_e32 vcc, s46, v3
	s_or_b64 s[44:45], vcc, s[44:45]
	s_andn2_b64 exec, exec, s[44:45]
	s_cbranch_execnz .LBB24_87
	s_branch .LBB24_82
.LBB24_88:                              ;   in Loop: Header=BB24_84 Depth=1
                                        ; implicit-def: $sgpr47
	s_and_b64 s[44:45], exec, s[42:43]
	s_or_b64 s[40:41], s[44:45], s[40:41]
	s_andn2_b64 exec, exec, s[40:41]
	s_cbranch_execnz .LBB24_84
.LBB24_89:
	s_or_b64 exec, exec, s[40:41]
	s_load_dwordx4 s[40:43], s[4:5], 0x28
	v_add_u32_e32 v3, v14, v12
	v_or_b32_e32 v3, 0x80000000, v3
	v_lshlrev_b32_e32 v7, 3, v0
	global_store_dword v[5:6], v3, off
	s_waitcnt lgkmcnt(0)
	global_load_dwordx2 v[3:4], v7, s[40:41]
	v_sub_co_u32_e32 v5, vcc, v14, v20
	v_subb_co_u32_e64 v6, s[40:41], 0, 0, vcc
	s_waitcnt vmcnt(0)
	v_add_co_u32_e32 v3, vcc, v5, v3
	v_addc_co_u32_e32 v4, vcc, v6, v4, vcc
	v_cmp_gt_u32_e32 vcc, s90, v0
	ds_write_b64 v7, v[3:4]
	s_waitcnt lgkmcnt(0)
	s_barrier
	s_and_saveexec_b64 s[42:43], vcc
	s_cbranch_execz .LBB24_91
; %bb.90:
	v_lshlrev_b32_e32 v5, 2, v0
	v_sub_u32_e32 v3, v7, v5
	ds_read_b32 v6, v3 offset:2048
	v_mov_b32_e32 v8, s83
	s_waitcnt lgkmcnt(0)
	v_lshrrev_b32_e32 v3, s92, v6
	v_and_b32_e32 v3, s94, v3
	v_lshlrev_b32_e32 v3, 3, v3
	ds_read_b64 v[3:4], v3
	v_xor_b32_e32 v6, 0x80000000, v6
	s_waitcnt lgkmcnt(0)
	v_lshlrev_b64 v[3:4], 2, v[3:4]
	v_add_co_u32_e64 v3, s[40:41], s82, v3
	v_addc_co_u32_e64 v4, s[40:41], v8, v4, s[40:41]
	v_add_co_u32_e64 v3, s[40:41], v3, v5
	v_addc_co_u32_e64 v4, s[40:41], 0, v4, s[40:41]
	global_store_dword v[3:4], v6, off
.LBB24_91:
	s_or_b64 exec, exec, s[42:43]
	v_or_b32_e32 v3, 0x100, v0
	v_cmp_gt_u32_e64 s[40:41], s90, v3
	s_and_saveexec_b64 s[44:45], s[40:41]
	s_cbranch_execz .LBB24_93
; %bb.92:
	v_lshlrev_b32_e32 v5, 2, v0
	v_sub_u32_e32 v3, v7, v5
	ds_read_b32 v6, v3 offset:3072
	v_mov_b32_e32 v8, s83
	s_waitcnt lgkmcnt(0)
	v_lshrrev_b32_e32 v3, s92, v6
	v_and_b32_e32 v3, s94, v3
	v_lshlrev_b32_e32 v3, 3, v3
	ds_read_b64 v[3:4], v3
	v_xor_b32_e32 v6, 0x80000000, v6
	s_waitcnt lgkmcnt(0)
	v_lshlrev_b64 v[3:4], 2, v[3:4]
	v_add_co_u32_e64 v3, s[42:43], s82, v3
	v_addc_co_u32_e64 v4, s[42:43], v8, v4, s[42:43]
	v_add_co_u32_e64 v3, s[42:43], v3, v5
	v_addc_co_u32_e64 v4, s[42:43], 0, v4, s[42:43]
	global_store_dword v[3:4], v6, off offset:1024
.LBB24_93:
	s_or_b64 exec, exec, s[44:45]
	v_or_b32_e32 v3, 0x200, v0
	v_cmp_gt_u32_e64 s[42:43], s90, v3
	s_and_saveexec_b64 s[46:47], s[42:43]
	s_cbranch_execz .LBB24_95
; %bb.94:
	v_lshlrev_b32_e32 v5, 2, v0
	v_sub_u32_e32 v3, v7, v5
	ds_read_b32 v6, v3 offset:4096
	v_mov_b32_e32 v8, s83
	s_waitcnt lgkmcnt(0)
	v_lshrrev_b32_e32 v3, s92, v6
	v_and_b32_e32 v3, s94, v3
	v_lshlrev_b32_e32 v3, 3, v3
	ds_read_b64 v[3:4], v3
	v_xor_b32_e32 v6, 0x80000000, v6
	s_waitcnt lgkmcnt(0)
	v_lshlrev_b64 v[3:4], 2, v[3:4]
	v_add_co_u32_e64 v3, s[44:45], s82, v3
	v_addc_co_u32_e64 v4, s[44:45], v8, v4, s[44:45]
	v_add_co_u32_e64 v3, s[44:45], v3, v5
	v_addc_co_u32_e64 v4, s[44:45], 0, v4, s[44:45]
	global_store_dword v[3:4], v6, off offset:2048
.LBB24_95:
	;; [unrolled: 24-line block ×3, first 2 shown]
	s_or_b64 exec, exec, s[48:49]
	v_or_b32_e32 v3, 0x400, v0
	v_cmp_gt_u32_e64 s[46:47], s90, v3
	s_and_saveexec_b64 s[50:51], s[46:47]
	s_cbranch_execz .LBB24_99
; %bb.98:
	v_lshlrev_b32_e32 v4, 2, v0
	v_sub_u32_e32 v4, v7, v4
	ds_read_b32 v6, v4 offset:6144
	v_lshlrev_b32_e32 v13, 2, v3
	v_mov_b32_e32 v8, s83
	s_waitcnt lgkmcnt(0)
	v_lshrrev_b32_e32 v4, s92, v6
	v_and_b32_e32 v4, s94, v4
	v_lshlrev_b32_e32 v4, 3, v4
	ds_read_b64 v[4:5], v4
	v_xor_b32_e32 v6, 0x80000000, v6
	s_waitcnt lgkmcnt(0)
	v_lshlrev_b64 v[3:4], 2, v[4:5]
	v_add_co_u32_e64 v3, s[48:49], s82, v3
	v_addc_co_u32_e64 v4, s[48:49], v8, v4, s[48:49]
	v_add_co_u32_e64 v3, s[48:49], v3, v13
	v_addc_co_u32_e64 v4, s[48:49], 0, v4, s[48:49]
	global_store_dword v[3:4], v6, off
.LBB24_99:
	s_or_b64 exec, exec, s[50:51]
	v_or_b32_e32 v3, 0x500, v0
	v_cmp_gt_u32_e64 s[48:49], s90, v3
	s_and_saveexec_b64 s[52:53], s[48:49]
	s_cbranch_execz .LBB24_101
; %bb.100:
	v_lshlrev_b32_e32 v4, 2, v0
	v_sub_u32_e32 v4, v7, v4
	ds_read_b32 v6, v4 offset:7168
	v_lshlrev_b32_e32 v13, 2, v3
	v_mov_b32_e32 v8, s83
	s_waitcnt lgkmcnt(0)
	v_lshrrev_b32_e32 v4, s92, v6
	v_and_b32_e32 v4, s94, v4
	v_lshlrev_b32_e32 v4, 3, v4
	ds_read_b64 v[4:5], v4
	v_xor_b32_e32 v6, 0x80000000, v6
	s_waitcnt lgkmcnt(0)
	v_lshlrev_b64 v[3:4], 2, v[4:5]
	v_add_co_u32_e64 v3, s[50:51], s82, v3
	v_addc_co_u32_e64 v4, s[50:51], v8, v4, s[50:51]
	v_add_co_u32_e64 v3, s[50:51], v3, v13
	v_addc_co_u32_e64 v4, s[50:51], 0, v4, s[50:51]
	global_store_dword v[3:4], v6, off
.LBB24_101:
	;; [unrolled: 25-line block ×3, first 2 shown]
	s_or_b64 exec, exec, s[54:55]
	v_or_b32_e32 v3, 0x700, v0
	v_cmp_gt_u32_e64 s[52:53], s90, v3
	s_and_saveexec_b64 s[56:57], s[52:53]
	s_cbranch_execz .LBB24_105
; %bb.104:
	v_lshlrev_b32_e32 v4, 2, v0
	ds_read_b32 v6, v4 offset:9216
	v_lshlrev_b32_e32 v13, 2, v3
	v_mov_b32_e32 v8, s83
	s_waitcnt lgkmcnt(0)
	v_lshrrev_b32_e32 v4, s92, v6
	v_and_b32_e32 v4, s94, v4
	v_lshlrev_b32_e32 v4, 3, v4
	ds_read_b64 v[4:5], v4
	v_xor_b32_e32 v6, 0x80000000, v6
	s_waitcnt lgkmcnt(0)
	v_lshlrev_b64 v[3:4], 2, v[4:5]
	v_add_co_u32_e64 v3, s[54:55], s82, v3
	v_addc_co_u32_e64 v4, s[54:55], v8, v4, s[54:55]
	v_add_co_u32_e64 v3, s[54:55], v3, v13
	v_addc_co_u32_e64 v4, s[54:55], 0, v4, s[54:55]
	global_store_dword v[3:4], v6, off
.LBB24_105:
	s_or_b64 exec, exec, s[56:57]
	v_or_b32_e32 v5, 0x800, v0
	v_cmp_gt_u32_e64 s[54:55], s90, v5
	s_and_saveexec_b64 s[58:59], s[54:55]
	s_cbranch_execz .LBB24_107
; %bb.106:
	v_lshlrev_b32_e32 v3, 2, v0
	ds_read_b32 v6, v3 offset:10240
	v_mov_b32_e32 v8, s83
	v_lshlrev_b32_e32 v13, 2, v5
	s_waitcnt lgkmcnt(0)
	v_lshrrev_b32_e32 v3, s92, v6
	v_and_b32_e32 v3, s94, v3
	v_lshlrev_b32_e32 v3, 3, v3
	ds_read_b64 v[3:4], v3
	v_xor_b32_e32 v6, 0x80000000, v6
	s_waitcnt lgkmcnt(0)
	v_lshlrev_b64 v[3:4], 2, v[3:4]
	v_add_co_u32_e64 v3, s[56:57], s82, v3
	v_addc_co_u32_e64 v4, s[56:57], v8, v4, s[56:57]
	v_add_co_u32_e64 v3, s[56:57], v3, v13
	v_addc_co_u32_e64 v4, s[56:57], 0, v4, s[56:57]
	global_store_dword v[3:4], v6, off
.LBB24_107:
	s_or_b64 exec, exec, s[58:59]
	v_or_b32_e32 v6, 0x900, v0
	v_cmp_gt_u32_e64 s[56:57], s90, v6
	s_and_saveexec_b64 s[60:61], s[56:57]
	s_cbranch_execz .LBB24_109
; %bb.108:
	v_lshlrev_b32_e32 v3, 2, v0
	ds_read_b32 v8, v3 offset:11264
	v_mov_b32_e32 v13, s83
	v_lshlrev_b32_e32 v14, 2, v6
	s_waitcnt lgkmcnt(0)
	v_lshrrev_b32_e32 v3, s92, v8
	v_and_b32_e32 v3, s94, v3
	v_lshlrev_b32_e32 v3, 3, v3
	ds_read_b64 v[3:4], v3
	v_xor_b32_e32 v8, 0x80000000, v8
	s_waitcnt lgkmcnt(0)
	v_lshlrev_b64 v[3:4], 2, v[3:4]
	v_add_co_u32_e64 v3, s[58:59], s82, v3
	v_addc_co_u32_e64 v4, s[58:59], v13, v4, s[58:59]
	v_add_co_u32_e64 v3, s[58:59], v3, v14
	v_addc_co_u32_e64 v4, s[58:59], 0, v4, s[58:59]
	global_store_dword v[3:4], v8, off
.LBB24_109:
	;; [unrolled: 24-line block ×10, first 2 shown]
	s_or_b64 exec, exec, s[90:91]
	s_lshl_b64 s[76:77], s[78:79], 1
	s_add_u32 s76, s84, s76
	s_addc_u32 s77, s85, s77
	v_lshlrev_b32_e32 v3, 1, v11
	v_mov_b32_e32 v4, s77
	v_add_co_u32_e64 v3, s[76:77], s76, v3
	v_addc_co_u32_e64 v4, s[76:77], 0, v4, s[76:77]
	v_lshlrev_b32_e32 v10, 1, v10
	v_add_co_u32_e64 v3, s[76:77], v3, v10
	v_addc_co_u32_e64 v4, s[76:77], 0, v4, s[76:77]
                                        ; implicit-def: $vgpr10
	s_and_saveexec_b64 s[76:77], s[0:1]
	s_xor_b64 s[0:1], exec, s[76:77]
	s_cbranch_execz .LBB24_143
; %bb.126:
	global_load_ushort v10, v[3:4], off
	s_or_b64 exec, exec, s[0:1]
                                        ; implicit-def: $vgpr11
	s_and_saveexec_b64 s[0:1], s[2:3]
	s_cbranch_execnz .LBB24_144
.LBB24_127:
	s_or_b64 exec, exec, s[0:1]
                                        ; implicit-def: $vgpr22
	s_and_saveexec_b64 s[0:1], s[74:75]
	s_cbranch_execz .LBB24_145
.LBB24_128:
	global_load_ushort v22, v[3:4], off offset:256
	s_or_b64 exec, exec, s[0:1]
                                        ; implicit-def: $vgpr24
	s_and_saveexec_b64 s[0:1], s[8:9]
	s_cbranch_execnz .LBB24_146
.LBB24_129:
	s_or_b64 exec, exec, s[0:1]
                                        ; implicit-def: $vgpr26
	s_and_saveexec_b64 s[0:1], s[10:11]
	s_cbranch_execz .LBB24_147
.LBB24_130:
	global_load_ushort v26, v[3:4], off offset:512
	s_or_b64 exec, exec, s[0:1]
                                        ; implicit-def: $vgpr27
	s_and_saveexec_b64 s[0:1], s[12:13]
	s_cbranch_execnz .LBB24_148
.LBB24_131:
	s_or_b64 exec, exec, s[0:1]
                                        ; implicit-def: $vgpr44
	s_and_saveexec_b64 s[0:1], s[14:15]
	s_cbranch_execz .LBB24_149
.LBB24_132:
	global_load_ushort v44, v[3:4], off offset:768
	s_or_b64 exec, exec, s[0:1]
                                        ; implicit-def: $vgpr46
	s_and_saveexec_b64 s[0:1], s[16:17]
	s_cbranch_execnz .LBB24_150
.LBB24_133:
	s_or_b64 exec, exec, s[0:1]
                                        ; implicit-def: $vgpr50
	s_and_saveexec_b64 s[0:1], s[18:19]
	s_cbranch_execz .LBB24_151
.LBB24_134:
	global_load_ushort v50, v[3:4], off offset:1024
	s_or_b64 exec, exec, s[0:1]
                                        ; implicit-def: $vgpr52
	s_and_saveexec_b64 s[0:1], s[20:21]
	s_cbranch_execnz .LBB24_152
.LBB24_135:
	s_or_b64 exec, exec, s[0:1]
                                        ; implicit-def: $vgpr56
	s_and_saveexec_b64 s[0:1], s[22:23]
	s_cbranch_execz .LBB24_153
.LBB24_136:
	global_load_ushort v56, v[3:4], off offset:1280
	s_or_b64 exec, exec, s[0:1]
                                        ; implicit-def: $vgpr57
	s_and_saveexec_b64 s[0:1], s[24:25]
	s_cbranch_execnz .LBB24_154
.LBB24_137:
	s_or_b64 exec, exec, s[0:1]
                                        ; implicit-def: $vgpr60
	s_and_saveexec_b64 s[0:1], s[26:27]
	s_cbranch_execz .LBB24_155
.LBB24_138:
	global_load_ushort v60, v[3:4], off offset:1536
	s_or_b64 exec, exec, s[0:1]
                                        ; implicit-def: $vgpr62
	s_and_saveexec_b64 s[0:1], s[28:29]
	s_cbranch_execnz .LBB24_156
.LBB24_139:
	s_or_b64 exec, exec, s[0:1]
                                        ; implicit-def: $vgpr64
	s_and_saveexec_b64 s[0:1], s[30:31]
	s_cbranch_execz .LBB24_157
.LBB24_140:
	global_load_ushort v64, v[3:4], off offset:1792
	s_or_b64 exec, exec, s[0:1]
                                        ; implicit-def: $vgpr66
	s_and_saveexec_b64 s[0:1], s[34:35]
	s_cbranch_execnz .LBB24_158
.LBB24_141:
	s_or_b64 exec, exec, s[0:1]
                                        ; implicit-def: $vgpr68
	s_and_saveexec_b64 s[0:1], s[36:37]
	s_cbranch_execz .LBB24_159
.LBB24_142:
	global_load_ushort v68, v[3:4], off offset:2048
	s_or_b64 exec, exec, s[0:1]
                                        ; implicit-def: $vgpr69
	s_and_saveexec_b64 s[0:1], s[38:39]
	s_cbranch_execnz .LBB24_160
	s_branch .LBB24_161
.LBB24_143:
	s_or_b64 exec, exec, s[0:1]
                                        ; implicit-def: $vgpr11
	s_and_saveexec_b64 s[0:1], s[2:3]
	s_cbranch_execz .LBB24_127
.LBB24_144:
	global_load_ushort v11, v[3:4], off offset:128
	s_or_b64 exec, exec, s[0:1]
                                        ; implicit-def: $vgpr22
	s_and_saveexec_b64 s[0:1], s[74:75]
	s_cbranch_execnz .LBB24_128
.LBB24_145:
	s_or_b64 exec, exec, s[0:1]
                                        ; implicit-def: $vgpr24
	s_and_saveexec_b64 s[0:1], s[8:9]
	s_cbranch_execz .LBB24_129
.LBB24_146:
	global_load_ushort v24, v[3:4], off offset:384
	s_or_b64 exec, exec, s[0:1]
                                        ; implicit-def: $vgpr26
	s_and_saveexec_b64 s[0:1], s[10:11]
	s_cbranch_execnz .LBB24_130
.LBB24_147:
	s_or_b64 exec, exec, s[0:1]
                                        ; implicit-def: $vgpr27
	s_and_saveexec_b64 s[0:1], s[12:13]
	s_cbranch_execz .LBB24_131
.LBB24_148:
	global_load_ushort v27, v[3:4], off offset:640
	s_or_b64 exec, exec, s[0:1]
                                        ; implicit-def: $vgpr44
	s_and_saveexec_b64 s[0:1], s[14:15]
	s_cbranch_execnz .LBB24_132
.LBB24_149:
	s_or_b64 exec, exec, s[0:1]
                                        ; implicit-def: $vgpr46
	s_and_saveexec_b64 s[0:1], s[16:17]
	s_cbranch_execz .LBB24_133
.LBB24_150:
	global_load_ushort v46, v[3:4], off offset:896
	s_or_b64 exec, exec, s[0:1]
                                        ; implicit-def: $vgpr50
	s_and_saveexec_b64 s[0:1], s[18:19]
	s_cbranch_execnz .LBB24_134
.LBB24_151:
	s_or_b64 exec, exec, s[0:1]
                                        ; implicit-def: $vgpr52
	s_and_saveexec_b64 s[0:1], s[20:21]
	s_cbranch_execz .LBB24_135
.LBB24_152:
	global_load_ushort v52, v[3:4], off offset:1152
	s_or_b64 exec, exec, s[0:1]
                                        ; implicit-def: $vgpr56
	s_and_saveexec_b64 s[0:1], s[22:23]
	s_cbranch_execnz .LBB24_136
.LBB24_153:
	s_or_b64 exec, exec, s[0:1]
                                        ; implicit-def: $vgpr57
	s_and_saveexec_b64 s[0:1], s[24:25]
	s_cbranch_execz .LBB24_137
.LBB24_154:
	global_load_ushort v57, v[3:4], off offset:1408
	s_or_b64 exec, exec, s[0:1]
                                        ; implicit-def: $vgpr60
	s_and_saveexec_b64 s[0:1], s[26:27]
	s_cbranch_execnz .LBB24_138
.LBB24_155:
	s_or_b64 exec, exec, s[0:1]
                                        ; implicit-def: $vgpr62
	s_and_saveexec_b64 s[0:1], s[28:29]
	s_cbranch_execz .LBB24_139
.LBB24_156:
	global_load_ushort v62, v[3:4], off offset:1664
	s_or_b64 exec, exec, s[0:1]
                                        ; implicit-def: $vgpr64
	s_and_saveexec_b64 s[0:1], s[30:31]
	s_cbranch_execnz .LBB24_140
.LBB24_157:
	s_or_b64 exec, exec, s[0:1]
                                        ; implicit-def: $vgpr66
	s_and_saveexec_b64 s[0:1], s[34:35]
	s_cbranch_execz .LBB24_141
.LBB24_158:
	global_load_ushort v66, v[3:4], off offset:1920
	s_or_b64 exec, exec, s[0:1]
                                        ; implicit-def: $vgpr68
	s_and_saveexec_b64 s[0:1], s[36:37]
	s_cbranch_execnz .LBB24_142
.LBB24_159:
	s_or_b64 exec, exec, s[0:1]
                                        ; implicit-def: $vgpr69
	s_and_saveexec_b64 s[0:1], s[38:39]
	s_cbranch_execz .LBB24_161
.LBB24_160:
	global_load_ushort v69, v[3:4], off offset:2176
.LBB24_161:
	s_or_b64 exec, exec, s[0:1]
	v_mov_b32_e32 v65, 0
	v_mov_b32_e32 v70, 0
	s_and_saveexec_b64 s[0:1], vcc
	s_cbranch_execz .LBB24_163
; %bb.162:
	v_lshlrev_b32_e32 v3, 2, v0
	ds_read_b32 v3, v3 offset:2048
	s_waitcnt lgkmcnt(0)
	v_lshrrev_b32_e32 v3, s92, v3
	v_and_b32_e32 v70, s94, v3
.LBB24_163:
	s_or_b64 exec, exec, s[0:1]
	s_and_saveexec_b64 s[0:1], s[40:41]
	s_cbranch_execz .LBB24_165
; %bb.164:
	v_lshlrev_b32_e32 v3, 2, v0
	ds_read_b32 v3, v3 offset:3072
	s_waitcnt lgkmcnt(0)
	v_lshrrev_b32_e32 v3, s92, v3
	v_and_b32_e32 v65, s94, v3
.LBB24_165:
	s_or_b64 exec, exec, s[0:1]
	v_mov_b32_e32 v61, 0
	v_mov_b32_e32 v67, 0
	s_and_saveexec_b64 s[0:1], s[42:43]
	s_cbranch_execz .LBB24_167
; %bb.166:
	v_lshlrev_b32_e32 v3, 2, v0
	ds_read_b32 v3, v3 offset:4096
	s_waitcnt lgkmcnt(0)
	v_lshrrev_b32_e32 v3, s92, v3
	v_and_b32_e32 v67, s94, v3
.LBB24_167:
	s_or_b64 exec, exec, s[0:1]
	s_and_saveexec_b64 s[0:1], s[44:45]
	s_cbranch_execz .LBB24_169
; %bb.168:
	v_lshlrev_b32_e32 v3, 2, v0
	ds_read_b32 v3, v3 offset:5120
	s_waitcnt lgkmcnt(0)
	v_lshrrev_b32_e32 v3, s92, v3
	v_and_b32_e32 v61, s94, v3
.LBB24_169:
	s_or_b64 exec, exec, s[0:1]
	v_mov_b32_e32 v58, 0
	v_mov_b32_e32 v63, 0
	s_and_saveexec_b64 s[0:1], s[46:47]
	;; [unrolled: 22-line block ×8, first 2 shown]
	s_cbranch_execz .LBB24_195
; %bb.194:
	v_lshlrev_b32_e32 v21, 2, v0
	ds_read_b32 v21, v21 offset:18432
	s_waitcnt lgkmcnt(0)
	v_lshrrev_b32_e32 v21, s92, v21
	v_and_b32_e32 v21, s94, v21
.LBB24_195:
	s_or_b64 exec, exec, s[0:1]
	s_and_saveexec_b64 s[0:1], s[72:73]
	s_cbranch_execz .LBB24_197
; %bb.196:
	v_lshlrev_b32_e32 v3, 2, v0
	ds_read_b32 v3, v3 offset:19456
	s_waitcnt lgkmcnt(0)
	v_lshrrev_b32_e32 v3, s92, v3
	v_and_b32_e32 v3, s94, v3
.LBB24_197:
	s_or_b64 exec, exec, s[0:1]
	v_lshlrev_b32_e32 v54, 1, v54
	s_waitcnt vmcnt(0)
	s_barrier
	ds_write_b16 v54, v10 offset:2048
	v_lshlrev_b32_e32 v10, 1, v51
	ds_write_b16 v10, v11 offset:2048
	v_lshlrev_b32_e32 v10, 1, v48
	;; [unrolled: 2-line block ×17, first 2 shown]
	ds_write_b16 v10, v69 offset:2048
	s_waitcnt lgkmcnt(0)
	s_barrier
	s_and_saveexec_b64 s[0:1], vcc
	s_cbranch_execz .LBB24_274
; %bb.198:
	v_lshlrev_b32_e32 v10, 3, v70
	ds_read_b64 v[10:11], v10
	v_lshlrev_b32_e32 v22, 1, v0
	ds_read_u16 v24, v22 offset:2048
	v_mov_b32_e32 v26, s87
	s_waitcnt lgkmcnt(1)
	v_lshlrev_b64 v[10:11], 1, v[10:11]
	v_add_co_u32_e32 v10, vcc, s86, v10
	v_addc_co_u32_e32 v11, vcc, v26, v11, vcc
	v_add_co_u32_e32 v10, vcc, v10, v22
	v_addc_co_u32_e32 v11, vcc, 0, v11, vcc
	s_waitcnt lgkmcnt(0)
	global_store_short v[10:11], v24, off
	s_or_b64 exec, exec, s[0:1]
	s_and_saveexec_b64 s[0:1], s[40:41]
	s_cbranch_execnz .LBB24_275
.LBB24_199:
	s_or_b64 exec, exec, s[0:1]
	s_and_saveexec_b64 s[0:1], s[42:43]
	s_cbranch_execz .LBB24_276
.LBB24_200:
	v_lshlrev_b32_e32 v10, 3, v67
	ds_read_b64 v[10:11], v10
	v_lshlrev_b32_e32 v22, 1, v0
	ds_read_u16 v24, v22 offset:3072
	v_mov_b32_e32 v26, s87
	s_waitcnt lgkmcnt(1)
	v_lshlrev_b64 v[10:11], 1, v[10:11]
	v_add_co_u32_e32 v10, vcc, s86, v10
	v_addc_co_u32_e32 v11, vcc, v26, v11, vcc
	v_add_co_u32_e32 v10, vcc, v10, v22
	v_addc_co_u32_e32 v11, vcc, 0, v11, vcc
	s_waitcnt lgkmcnt(0)
	global_store_short v[10:11], v24, off offset:1024
	s_or_b64 exec, exec, s[0:1]
	s_and_saveexec_b64 s[0:1], s[44:45]
	s_cbranch_execnz .LBB24_277
.LBB24_201:
	s_or_b64 exec, exec, s[0:1]
	s_and_saveexec_b64 s[0:1], s[46:47]
	s_cbranch_execz .LBB24_278
.LBB24_202:
	v_lshlrev_b32_e32 v10, 3, v63
	ds_read_b64 v[10:11], v10
	v_lshlrev_b32_e32 v22, 1, v0
	ds_read_u16 v24, v22 offset:4096
	v_mov_b32_e32 v26, s87
	s_waitcnt lgkmcnt(1)
	v_lshlrev_b64 v[10:11], 1, v[10:11]
	v_add_co_u32_e32 v10, vcc, s86, v10
	v_addc_co_u32_e32 v11, vcc, v26, v11, vcc
	v_add_co_u32_e32 v10, vcc, v10, v22
	v_addc_co_u32_e32 v11, vcc, 0, v11, vcc
	s_waitcnt lgkmcnt(0)
	global_store_short v[10:11], v24, off offset:2048
	s_or_b64 exec, exec, s[0:1]
	s_and_saveexec_b64 s[0:1], s[48:49]
	s_cbranch_execnz .LBB24_279
.LBB24_203:
	s_or_b64 exec, exec, s[0:1]
	s_and_saveexec_b64 s[0:1], s[50:51]
	s_cbranch_execz .LBB24_280
.LBB24_204:
	v_lshlrev_b32_e32 v10, 3, v59
	ds_read_b64 v[10:11], v10
	v_lshlrev_b32_e32 v22, 1, v0
	ds_read_u16 v24, v22 offset:5120
	v_mov_b32_e32 v26, s87
	s_waitcnt lgkmcnt(1)
	v_lshlrev_b64 v[10:11], 1, v[10:11]
	v_add_co_u32_e32 v10, vcc, s86, v10
	v_addc_co_u32_e32 v11, vcc, v26, v11, vcc
	v_add_co_u32_e32 v10, vcc, v10, v22
	v_addc_co_u32_e32 v11, vcc, 0, v11, vcc
	s_waitcnt lgkmcnt(0)
	global_store_short v[10:11], v24, off offset:3072
	s_or_b64 exec, exec, s[0:1]
	s_and_saveexec_b64 s[0:1], s[52:53]
	s_cbranch_execnz .LBB24_281
.LBB24_205:
	s_or_b64 exec, exec, s[0:1]
	s_and_saveexec_b64 s[0:1], s[54:55]
	s_cbranch_execz .LBB24_282
.LBB24_206:
	v_lshlrev_b32_e32 v10, 3, v55
	ds_read_b64 v[10:11], v10
	v_lshlrev_b32_e32 v22, 1, v0
	ds_read_u16 v22, v22 offset:6144
	v_mov_b32_e32 v24, s87
	v_lshlrev_b32_e32 v5, 1, v5
	s_waitcnt lgkmcnt(1)
	v_lshlrev_b64 v[10:11], 1, v[10:11]
	v_add_co_u32_e32 v10, vcc, s86, v10
	v_addc_co_u32_e32 v11, vcc, v24, v11, vcc
	v_add_co_u32_e32 v10, vcc, v10, v5
	v_addc_co_u32_e32 v11, vcc, 0, v11, vcc
	s_waitcnt lgkmcnt(0)
	global_store_short v[10:11], v22, off
	s_or_b64 exec, exec, s[0:1]
	s_and_saveexec_b64 s[0:1], s[56:57]
	s_cbranch_execnz .LBB24_283
.LBB24_207:
	s_or_b64 exec, exec, s[0:1]
	s_and_saveexec_b64 s[0:1], s[58:59]
	s_cbranch_execz .LBB24_284
.LBB24_208:
	v_lshlrev_b32_e32 v5, 3, v49
	ds_read_b64 v[5:6], v5
	v_lshlrev_b32_e32 v10, 1, v0
	ds_read_u16 v10, v10 offset:7168
	v_mov_b32_e32 v11, s87
	v_lshlrev_b32_e32 v8, 1, v8
	s_waitcnt lgkmcnt(1)
	v_lshlrev_b64 v[5:6], 1, v[5:6]
	v_add_co_u32_e32 v5, vcc, s86, v5
	v_addc_co_u32_e32 v6, vcc, v11, v6, vcc
	v_add_co_u32_e32 v5, vcc, v5, v8
	v_addc_co_u32_e32 v6, vcc, 0, v6, vcc
	s_waitcnt lgkmcnt(0)
	global_store_short v[5:6], v10, off
	s_or_b64 exec, exec, s[0:1]
	s_and_saveexec_b64 s[0:1], s[60:61]
	s_cbranch_execnz .LBB24_285
.LBB24_209:
	s_or_b64 exec, exec, s[0:1]
	s_and_saveexec_b64 s[0:1], s[62:63]
	s_cbranch_execz .LBB24_286
.LBB24_210:
	v_lshlrev_b32_e32 v5, 3, v43
	ds_read_b64 v[5:6], v5
	v_lshlrev_b32_e32 v8, 1, v0
	ds_read_u16 v8, v8 offset:8192
	v_mov_b32_e32 v10, s87
	s_waitcnt lgkmcnt(1)
	v_lshlrev_b64 v[5:6], 1, v[5:6]
	v_add_co_u32_e32 v5, vcc, s86, v5
	v_addc_co_u32_e32 v6, vcc, v10, v6, vcc
	v_lshlrev_b32_e32 v10, 1, v14
	v_add_co_u32_e32 v5, vcc, v5, v10
	v_addc_co_u32_e32 v6, vcc, 0, v6, vcc
	s_waitcnt lgkmcnt(0)
	global_store_short v[5:6], v8, off
	s_or_b64 exec, exec, s[0:1]
	s_and_saveexec_b64 s[0:1], s[64:65]
	s_cbranch_execnz .LBB24_287
.LBB24_211:
	s_or_b64 exec, exec, s[0:1]
	s_and_saveexec_b64 s[0:1], s[66:67]
	s_cbranch_execz .LBB24_288
.LBB24_212:
	v_lshlrev_b32_e32 v5, 3, v25
	ds_read_b64 v[5:6], v5
	v_lshlrev_b32_e32 v8, 1, v0
	ds_read_u16 v8, v8 offset:9216
	v_mov_b32_e32 v10, s87
	s_waitcnt lgkmcnt(1)
	v_lshlrev_b64 v[5:6], 1, v[5:6]
	v_add_co_u32_e32 v5, vcc, s86, v5
	v_addc_co_u32_e32 v6, vcc, v10, v6, vcc
	v_lshlrev_b32_e32 v10, 1, v16
	v_add_co_u32_e32 v5, vcc, v5, v10
	v_addc_co_u32_e32 v6, vcc, 0, v6, vcc
	s_waitcnt lgkmcnt(0)
	global_store_short v[5:6], v8, off
	s_or_b64 exec, exec, s[0:1]
	s_and_saveexec_b64 s[0:1], s[68:69]
	s_cbranch_execnz .LBB24_289
.LBB24_213:
	s_or_b64 exec, exec, s[0:1]
	s_and_saveexec_b64 s[0:1], s[70:71]
	s_cbranch_execz .LBB24_290
.LBB24_214:
	v_lshlrev_b32_e32 v4, 3, v21
	ds_read_b64 v[4:5], v4
	v_lshlrev_b32_e32 v6, 1, v0
	ds_read_u16 v6, v6 offset:10240
	v_mov_b32_e32 v8, s87
	s_waitcnt lgkmcnt(1)
	v_lshlrev_b64 v[4:5], 1, v[4:5]
	v_add_co_u32_e32 v4, vcc, s86, v4
	v_addc_co_u32_e32 v5, vcc, v8, v5, vcc
	v_lshlrev_b32_e32 v8, 1, v18
	v_add_co_u32_e32 v4, vcc, v4, v8
	v_addc_co_u32_e32 v5, vcc, 0, v5, vcc
	s_waitcnt lgkmcnt(0)
	global_store_short v[4:5], v6, off
	s_or_b64 exec, exec, s[0:1]
	s_and_saveexec_b64 s[0:1], s[72:73]
	s_cbranch_execnz .LBB24_291
.LBB24_215:
	s_or_b64 exec, exec, s[0:1]
	s_add_i32 s33, s33, -1
	s_cmp_eq_u32 s6, s33
	s_cbranch_scc0 .LBB24_217
.LBB24_216:
	ds_read_b64 v[3:4], v7
	v_add_co_u32_e32 v5, vcc, v12, v20
	v_addc_co_u32_e64 v6, s[0:1], 0, 0, vcc
	s_load_dwordx4 s[0:3], s[4:5], 0x28
	s_waitcnt lgkmcnt(0)
	v_add_co_u32_e32 v3, vcc, v5, v3
	v_addc_co_u32_e32 v4, vcc, v6, v4, vcc
	global_store_dwordx2 v7, v[3:4], s[2:3]
.LBB24_217:
	s_mov_b64 s[0:1], 0
.LBB24_218:
	s_and_b64 vcc, exec, s[0:1]
	s_cbranch_vccz .LBB24_273
; %bb.219:
	s_mov_b32 s79, 0
	s_lshl_b64 s[0:1], s[78:79], 2
	v_mbcnt_hi_u32_b32 v8, -1, v9
	s_add_u32 s0, s80, s0
	v_lshlrev_b32_e32 v4, 2, v8
	v_add_co_u32_e32 v4, vcc, s0, v4
	s_load_dword s8, s[4:5], 0x50
	s_load_dword s0, s[4:5], 0x5c
	s_addc_u32 s1, s81, s1
	v_and_b32_e32 v9, 0xc0, v0
	v_mul_u32_u24_e32 v7, 18, v9
	v_mov_b32_e32 v5, s1
	v_addc_co_u32_e32 v5, vcc, 0, v5, vcc
	v_lshlrev_b32_e32 v6, 2, v7
	v_add_co_u32_e32 v4, vcc, v4, v6
	s_add_u32 s1, s4, 0x50
	v_addc_co_u32_e32 v5, vcc, 0, v5, vcc
	s_addc_u32 s2, s5, 0
	s_waitcnt lgkmcnt(0)
	s_lshr_b32 s3, s0, 16
	global_load_dword v10, v[4:5], off
	s_cmp_lt_u32 s6, s8
	s_cselect_b32 s0, 12, 18
	s_add_u32 s0, s1, s0
	v_mov_b32_e32 v3, 0
	s_addc_u32 s1, s2, 0
	global_load_ushort v12, v3, s[0:1]
	v_mul_u32_u24_e32 v6, 20, v0
	ds_write2_b32 v6, v3, v3 offset0:4 offset1:5
	ds_write2_b32 v6, v3, v3 offset0:6 offset1:7
	ds_write_b32 v6, v3 offset:32
	global_load_dword v11, v[4:5], off offset:256
	global_load_dword v15, v[4:5], off offset:512
	;; [unrolled: 1-line block ×15, first 2 shown]
	s_movk_i32 s0, 0x1000
	v_mad_u32_u24 v13, v2, s3, v1
	v_add_co_u32_e32 v1, vcc, s0, v4
	v_addc_co_u32_e32 v2, vcc, 0, v5, vcc
	global_load_dword v24, v[1:2], off
	global_load_dword v18, v[1:2], off offset:256
	s_lshl_b32 s0, -1, s93
	s_not_b32 s9, s0
	s_waitcnt vmcnt(0) lgkmcnt(0)
	s_barrier
	; wave barrier
	v_xor_b32_e32 v5, 0x80000000, v10
	v_lshrrev_b32_e32 v1, s92, v5
	v_and_b32_e32 v14, s9, v1
	v_and_b32_e32 v10, 1, v14
	v_lshlrev_b32_e32 v4, 30, v14
	v_mad_u64_u32 v[1:2], s[0:1], v13, v12, v[0:1]
	v_add_co_u32_e32 v12, vcc, -1, v10
	v_addc_co_u32_e64 v13, s[0:1], 0, -1, vcc
	v_mul_lo_u32 v2, v14, 20
	v_cmp_ne_u32_e32 vcc, 0, v10
	v_cmp_gt_i64_e64 s[0:1], 0, v[3:4]
	v_not_b32_e32 v10, v4
	v_lshlrev_b32_e32 v4, 29, v14
	v_xor_b32_e32 v13, vcc_hi, v13
	v_xor_b32_e32 v12, vcc_lo, v12
	v_ashrrev_i32_e32 v10, 31, v10
	v_cmp_gt_i64_e32 vcc, 0, v[3:4]
	v_not_b32_e32 v4, v4
	v_and_b32_e32 v13, exec_hi, v13
	v_and_b32_e32 v12, exec_lo, v12
	v_xor_b32_e32 v16, s1, v10
	v_xor_b32_e32 v10, s0, v10
	v_ashrrev_i32_e32 v4, 31, v4
	v_lshrrev_b32_e32 v20, 6, v1
	v_and_b32_e32 v1, v13, v16
	v_and_b32_e32 v12, v12, v10
	v_xor_b32_e32 v13, vcc_hi, v4
	v_xor_b32_e32 v4, vcc_lo, v4
	v_lshl_add_u32 v10, v20, 2, v2
	v_and_b32_e32 v2, v12, v4
	v_lshlrev_b32_e32 v4, 28, v14
	v_cmp_gt_i64_e32 vcc, 0, v[3:4]
	v_not_b32_e32 v4, v4
	v_ashrrev_i32_e32 v4, 31, v4
	v_xor_b32_e32 v12, vcc_hi, v4
	v_xor_b32_e32 v4, vcc_lo, v4
	v_and_b32_e32 v2, v2, v4
	v_lshlrev_b32_e32 v4, 27, v14
	v_cmp_gt_i64_e32 vcc, 0, v[3:4]
	v_not_b32_e32 v4, v4
	v_and_b32_e32 v1, v1, v13
	v_ashrrev_i32_e32 v4, 31, v4
	v_and_b32_e32 v1, v1, v12
	v_xor_b32_e32 v12, vcc_hi, v4
	v_xor_b32_e32 v4, vcc_lo, v4
	v_and_b32_e32 v2, v2, v4
	v_lshlrev_b32_e32 v4, 26, v14
	v_cmp_gt_i64_e32 vcc, 0, v[3:4]
	v_not_b32_e32 v4, v4
	v_ashrrev_i32_e32 v4, 31, v4
	v_and_b32_e32 v1, v1, v12
	v_xor_b32_e32 v12, vcc_hi, v4
	v_xor_b32_e32 v4, vcc_lo, v4
	v_and_b32_e32 v2, v2, v4
	v_lshlrev_b32_e32 v4, 25, v14
	v_cmp_gt_i64_e32 vcc, 0, v[3:4]
	v_not_b32_e32 v4, v4
	v_ashrrev_i32_e32 v4, 31, v4
	v_and_b32_e32 v1, v1, v12
	v_xor_b32_e32 v12, vcc_hi, v4
	v_xor_b32_e32 v4, vcc_lo, v4
	v_and_b32_e32 v1, v1, v12
	v_and_b32_e32 v12, v2, v4
	v_lshlrev_b32_e32 v4, 24, v14
	v_cmp_gt_i64_e32 vcc, 0, v[3:4]
	v_not_b32_e32 v2, v4
	v_ashrrev_i32_e32 v2, 31, v2
	v_xor_b32_e32 v4, vcc_hi, v2
	v_xor_b32_e32 v13, vcc_lo, v2
	v_and_b32_e32 v2, v1, v4
	v_and_b32_e32 v1, v12, v13
	v_mbcnt_lo_u32_b32 v4, v1, 0
	v_mbcnt_hi_u32_b32 v12, v2, v4
	v_cmp_ne_u64_e32 vcc, 0, v[1:2]
	v_cmp_eq_u32_e64 s[0:1], 0, v12
	s_and_b64 s[2:3], vcc, s[0:1]
	s_and_saveexec_b64 s[0:1], s[2:3]
; %bb.220:
	v_bcnt_u32_b32 v1, v1, 0
	v_bcnt_u32_b32 v1, v2, v1
	ds_write_b32 v10, v1 offset:16
; %bb.221:
	s_or_b64 exec, exec, s[0:1]
	v_xor_b32_e32 v11, 0x80000000, v11
	v_lshrrev_b32_e32 v1, s92, v11
	v_and_b32_e32 v1, s9, v1
	v_mul_lo_u32 v2, v1, 20
	v_and_b32_e32 v4, 1, v1
	; wave barrier
	v_lshl_add_u32 v14, v20, 2, v2
	v_add_co_u32_e32 v2, vcc, -1, v4
	v_addc_co_u32_e64 v16, s[0:1], 0, -1, vcc
	v_cmp_ne_u32_e32 vcc, 0, v4
	v_xor_b32_e32 v4, vcc_hi, v16
	v_and_b32_e32 v16, exec_hi, v4
	v_lshlrev_b32_e32 v4, 30, v1
	v_xor_b32_e32 v2, vcc_lo, v2
	v_cmp_gt_i64_e32 vcc, 0, v[3:4]
	v_not_b32_e32 v4, v4
	v_ashrrev_i32_e32 v4, 31, v4
	v_and_b32_e32 v2, exec_lo, v2
	v_xor_b32_e32 v17, vcc_hi, v4
	v_xor_b32_e32 v4, vcc_lo, v4
	v_and_b32_e32 v2, v2, v4
	v_lshlrev_b32_e32 v4, 29, v1
	v_cmp_gt_i64_e32 vcc, 0, v[3:4]
	v_not_b32_e32 v4, v4
	v_ashrrev_i32_e32 v4, 31, v4
	v_and_b32_e32 v16, v16, v17
	v_xor_b32_e32 v17, vcc_hi, v4
	v_xor_b32_e32 v4, vcc_lo, v4
	v_and_b32_e32 v2, v2, v4
	v_lshlrev_b32_e32 v4, 28, v1
	v_cmp_gt_i64_e32 vcc, 0, v[3:4]
	v_not_b32_e32 v4, v4
	v_ashrrev_i32_e32 v4, 31, v4
	v_and_b32_e32 v16, v16, v17
	v_xor_b32_e32 v17, vcc_hi, v4
	v_xor_b32_e32 v4, vcc_lo, v4
	v_and_b32_e32 v2, v2, v4
	v_lshlrev_b32_e32 v4, 27, v1
	v_cmp_gt_i64_e32 vcc, 0, v[3:4]
	v_not_b32_e32 v4, v4
	v_ashrrev_i32_e32 v4, 31, v4
	v_and_b32_e32 v16, v16, v17
	v_xor_b32_e32 v17, vcc_hi, v4
	v_xor_b32_e32 v4, vcc_lo, v4
	v_and_b32_e32 v2, v2, v4
	v_lshlrev_b32_e32 v4, 26, v1
	v_cmp_gt_i64_e32 vcc, 0, v[3:4]
	v_not_b32_e32 v4, v4
	v_ashrrev_i32_e32 v4, 31, v4
	v_and_b32_e32 v16, v16, v17
	v_xor_b32_e32 v17, vcc_hi, v4
	v_xor_b32_e32 v4, vcc_lo, v4
	v_and_b32_e32 v2, v2, v4
	v_lshlrev_b32_e32 v4, 25, v1
	v_cmp_gt_i64_e32 vcc, 0, v[3:4]
	v_not_b32_e32 v4, v4
	v_ashrrev_i32_e32 v4, 31, v4
	v_and_b32_e32 v16, v16, v17
	v_xor_b32_e32 v17, vcc_hi, v4
	v_xor_b32_e32 v4, vcc_lo, v4
	v_and_b32_e32 v16, v16, v17
	v_and_b32_e32 v17, v2, v4
	v_lshlrev_b32_e32 v4, 24, v1
	v_cmp_gt_i64_e32 vcc, 0, v[3:4]
	v_not_b32_e32 v1, v4
	v_ashrrev_i32_e32 v1, 31, v1
	v_xor_b32_e32 v2, vcc_hi, v1
	v_xor_b32_e32 v1, vcc_lo, v1
	ds_read_b32 v13, v14 offset:16
	v_and_b32_e32 v1, v17, v1
	v_and_b32_e32 v2, v16, v2
	v_mbcnt_lo_u32_b32 v3, v1, 0
	v_mbcnt_hi_u32_b32 v16, v2, v3
	v_cmp_ne_u64_e32 vcc, 0, v[1:2]
	v_cmp_eq_u32_e64 s[0:1], 0, v16
	s_and_b64 s[2:3], vcc, s[0:1]
	; wave barrier
	s_and_saveexec_b64 s[0:1], s[2:3]
	s_cbranch_execz .LBB24_223
; %bb.222:
	v_bcnt_u32_b32 v1, v1, 0
	v_bcnt_u32_b32 v1, v2, v1
	s_waitcnt lgkmcnt(0)
	v_add_u32_e32 v1, v13, v1
	ds_write_b32 v14, v1 offset:16
.LBB24_223:
	s_or_b64 exec, exec, s[0:1]
	v_xor_b32_e32 v15, 0x80000000, v15
	v_lshrrev_b32_e32 v1, s92, v15
	v_and_b32_e32 v3, s9, v1
	v_mul_lo_u32 v1, v3, 20
	v_and_b32_e32 v2, 1, v3
	v_add_co_u32_e32 v4, vcc, -1, v2
	v_addc_co_u32_e64 v22, s[0:1], 0, -1, vcc
	v_cmp_ne_u32_e32 vcc, 0, v2
	v_xor_b32_e32 v2, vcc_hi, v22
	v_lshl_add_u32 v19, v20, 2, v1
	v_mov_b32_e32 v1, 0
	v_and_b32_e32 v22, exec_hi, v2
	v_lshlrev_b32_e32 v2, 30, v3
	v_xor_b32_e32 v4, vcc_lo, v4
	v_cmp_gt_i64_e32 vcc, 0, v[1:2]
	v_not_b32_e32 v2, v2
	v_ashrrev_i32_e32 v2, 31, v2
	v_and_b32_e32 v4, exec_lo, v4
	v_xor_b32_e32 v23, vcc_hi, v2
	v_xor_b32_e32 v2, vcc_lo, v2
	v_and_b32_e32 v4, v4, v2
	v_lshlrev_b32_e32 v2, 29, v3
	v_cmp_gt_i64_e32 vcc, 0, v[1:2]
	v_not_b32_e32 v2, v2
	v_ashrrev_i32_e32 v2, 31, v2
	v_and_b32_e32 v22, v22, v23
	v_xor_b32_e32 v23, vcc_hi, v2
	v_xor_b32_e32 v2, vcc_lo, v2
	v_and_b32_e32 v4, v4, v2
	v_lshlrev_b32_e32 v2, 28, v3
	v_cmp_gt_i64_e32 vcc, 0, v[1:2]
	v_not_b32_e32 v2, v2
	v_ashrrev_i32_e32 v2, 31, v2
	v_and_b32_e32 v22, v22, v23
	;; [unrolled: 8-line block ×5, first 2 shown]
	v_xor_b32_e32 v23, vcc_hi, v2
	v_xor_b32_e32 v2, vcc_lo, v2
	v_and_b32_e32 v4, v4, v2
	v_lshlrev_b32_e32 v2, 24, v3
	v_cmp_gt_i64_e32 vcc, 0, v[1:2]
	v_not_b32_e32 v2, v2
	v_ashrrev_i32_e32 v2, 31, v2
	v_xor_b32_e32 v3, vcc_hi, v2
	v_xor_b32_e32 v2, vcc_lo, v2
	; wave barrier
	ds_read_b32 v17, v19 offset:16
	v_and_b32_e32 v22, v22, v23
	v_and_b32_e32 v2, v4, v2
	;; [unrolled: 1-line block ×3, first 2 shown]
	v_mbcnt_lo_u32_b32 v4, v2, 0
	v_mbcnt_hi_u32_b32 v22, v3, v4
	v_cmp_ne_u64_e32 vcc, 0, v[2:3]
	v_cmp_eq_u32_e64 s[0:1], 0, v22
	s_and_b64 s[2:3], vcc, s[0:1]
	; wave barrier
	s_and_saveexec_b64 s[0:1], s[2:3]
	s_cbranch_execz .LBB24_225
; %bb.224:
	v_bcnt_u32_b32 v2, v2, 0
	v_bcnt_u32_b32 v2, v3, v2
	s_waitcnt lgkmcnt(0)
	v_add_u32_e32 v2, v17, v2
	ds_write_b32 v19, v2 offset:16
.LBB24_225:
	s_or_b64 exec, exec, s[0:1]
	v_xor_b32_e32 v21, 0x80000000, v21
	v_lshrrev_b32_e32 v2, s92, v21
	v_and_b32_e32 v3, s9, v2
	v_mul_lo_u32 v2, v3, 20
	v_and_b32_e32 v4, 1, v3
	; wave barrier
	v_lshl_add_u32 v25, v20, 2, v2
	v_add_co_u32_e32 v2, vcc, -1, v4
	v_addc_co_u32_e64 v27, s[0:1], 0, -1, vcc
	v_cmp_ne_u32_e32 vcc, 0, v4
	v_xor_b32_e32 v2, vcc_lo, v2
	v_xor_b32_e32 v4, vcc_hi, v27
	v_and_b32_e32 v27, exec_lo, v2
	v_lshlrev_b32_e32 v2, 30, v3
	v_cmp_gt_i64_e32 vcc, 0, v[1:2]
	v_not_b32_e32 v2, v2
	v_ashrrev_i32_e32 v2, 31, v2
	v_xor_b32_e32 v28, vcc_hi, v2
	v_xor_b32_e32 v2, vcc_lo, v2
	v_and_b32_e32 v27, v27, v2
	v_lshlrev_b32_e32 v2, 29, v3
	v_cmp_gt_i64_e32 vcc, 0, v[1:2]
	v_not_b32_e32 v2, v2
	v_and_b32_e32 v4, exec_hi, v4
	v_ashrrev_i32_e32 v2, 31, v2
	v_and_b32_e32 v4, v4, v28
	v_xor_b32_e32 v28, vcc_hi, v2
	v_xor_b32_e32 v2, vcc_lo, v2
	v_and_b32_e32 v27, v27, v2
	v_lshlrev_b32_e32 v2, 28, v3
	v_cmp_gt_i64_e32 vcc, 0, v[1:2]
	v_not_b32_e32 v2, v2
	v_ashrrev_i32_e32 v2, 31, v2
	v_and_b32_e32 v4, v4, v28
	v_xor_b32_e32 v28, vcc_hi, v2
	v_xor_b32_e32 v2, vcc_lo, v2
	v_and_b32_e32 v27, v27, v2
	v_lshlrev_b32_e32 v2, 27, v3
	v_cmp_gt_i64_e32 vcc, 0, v[1:2]
	v_not_b32_e32 v2, v2
	;; [unrolled: 8-line block ×5, first 2 shown]
	v_ashrrev_i32_e32 v1, 31, v1
	v_xor_b32_e32 v2, vcc_hi, v1
	v_xor_b32_e32 v1, vcc_lo, v1
	ds_read_b32 v23, v25 offset:16
	v_and_b32_e32 v4, v4, v28
	v_and_b32_e32 v1, v27, v1
	;; [unrolled: 1-line block ×3, first 2 shown]
	v_mbcnt_lo_u32_b32 v3, v1, 0
	v_mbcnt_hi_u32_b32 v27, v2, v3
	v_cmp_ne_u64_e32 vcc, 0, v[1:2]
	v_cmp_eq_u32_e64 s[0:1], 0, v27
	s_and_b64 s[2:3], vcc, s[0:1]
	; wave barrier
	s_and_saveexec_b64 s[0:1], s[2:3]
	s_cbranch_execz .LBB24_227
; %bb.226:
	v_bcnt_u32_b32 v1, v1, 0
	v_bcnt_u32_b32 v1, v2, v1
	s_waitcnt lgkmcnt(0)
	v_add_u32_e32 v1, v23, v1
	ds_write_b32 v25, v1 offset:16
.LBB24_227:
	s_or_b64 exec, exec, s[0:1]
	v_xor_b32_e32 v26, 0x80000000, v26
	v_lshrrev_b32_e32 v1, s92, v26
	v_and_b32_e32 v3, s9, v1
	v_mul_lo_u32 v1, v3, 20
	v_and_b32_e32 v2, 1, v3
	v_add_co_u32_e32 v4, vcc, -1, v2
	v_addc_co_u32_e64 v32, s[0:1], 0, -1, vcc
	v_cmp_ne_u32_e32 vcc, 0, v2
	v_xor_b32_e32 v2, vcc_hi, v32
	v_lshl_add_u32 v30, v20, 2, v1
	v_mov_b32_e32 v1, 0
	v_and_b32_e32 v32, exec_hi, v2
	v_lshlrev_b32_e32 v2, 30, v3
	v_xor_b32_e32 v4, vcc_lo, v4
	v_cmp_gt_i64_e32 vcc, 0, v[1:2]
	v_not_b32_e32 v2, v2
	v_ashrrev_i32_e32 v2, 31, v2
	v_and_b32_e32 v4, exec_lo, v4
	v_xor_b32_e32 v33, vcc_hi, v2
	v_xor_b32_e32 v2, vcc_lo, v2
	v_and_b32_e32 v4, v4, v2
	v_lshlrev_b32_e32 v2, 29, v3
	v_cmp_gt_i64_e32 vcc, 0, v[1:2]
	v_not_b32_e32 v2, v2
	v_ashrrev_i32_e32 v2, 31, v2
	v_and_b32_e32 v32, v32, v33
	v_xor_b32_e32 v33, vcc_hi, v2
	v_xor_b32_e32 v2, vcc_lo, v2
	v_and_b32_e32 v4, v4, v2
	v_lshlrev_b32_e32 v2, 28, v3
	v_cmp_gt_i64_e32 vcc, 0, v[1:2]
	v_not_b32_e32 v2, v2
	v_ashrrev_i32_e32 v2, 31, v2
	v_and_b32_e32 v32, v32, v33
	v_xor_b32_e32 v33, vcc_hi, v2
	v_xor_b32_e32 v2, vcc_lo, v2
	v_and_b32_e32 v4, v4, v2
	v_lshlrev_b32_e32 v2, 27, v3
	v_cmp_gt_i64_e32 vcc, 0, v[1:2]
	v_not_b32_e32 v2, v2
	v_ashrrev_i32_e32 v2, 31, v2
	v_and_b32_e32 v32, v32, v33
	v_xor_b32_e32 v33, vcc_hi, v2
	v_xor_b32_e32 v2, vcc_lo, v2
	v_and_b32_e32 v4, v4, v2
	v_lshlrev_b32_e32 v2, 26, v3
	v_cmp_gt_i64_e32 vcc, 0, v[1:2]
	v_not_b32_e32 v2, v2
	v_ashrrev_i32_e32 v2, 31, v2
	v_and_b32_e32 v32, v32, v33
	v_xor_b32_e32 v33, vcc_hi, v2
	v_xor_b32_e32 v2, vcc_lo, v2
	v_and_b32_e32 v4, v4, v2
	v_lshlrev_b32_e32 v2, 25, v3
	v_cmp_gt_i64_e32 vcc, 0, v[1:2]
	v_not_b32_e32 v2, v2
	v_ashrrev_i32_e32 v2, 31, v2
	v_and_b32_e32 v32, v32, v33
	v_xor_b32_e32 v33, vcc_hi, v2
	v_xor_b32_e32 v2, vcc_lo, v2
	v_and_b32_e32 v4, v4, v2
	v_lshlrev_b32_e32 v2, 24, v3
	v_cmp_gt_i64_e32 vcc, 0, v[1:2]
	v_not_b32_e32 v2, v2
	v_ashrrev_i32_e32 v2, 31, v2
	v_xor_b32_e32 v3, vcc_hi, v2
	v_xor_b32_e32 v2, vcc_lo, v2
	; wave barrier
	ds_read_b32 v28, v30 offset:16
	v_and_b32_e32 v32, v32, v33
	v_and_b32_e32 v2, v4, v2
	;; [unrolled: 1-line block ×3, first 2 shown]
	v_mbcnt_lo_u32_b32 v4, v2, 0
	v_mbcnt_hi_u32_b32 v32, v3, v4
	v_cmp_ne_u64_e32 vcc, 0, v[2:3]
	v_cmp_eq_u32_e64 s[0:1], 0, v32
	s_and_b64 s[2:3], vcc, s[0:1]
	; wave barrier
	s_and_saveexec_b64 s[0:1], s[2:3]
	s_cbranch_execz .LBB24_229
; %bb.228:
	v_bcnt_u32_b32 v2, v2, 0
	v_bcnt_u32_b32 v2, v3, v2
	s_waitcnt lgkmcnt(0)
	v_add_u32_e32 v2, v28, v2
	ds_write_b32 v30, v2 offset:16
.LBB24_229:
	s_or_b64 exec, exec, s[0:1]
	v_xor_b32_e32 v31, 0x80000000, v31
	v_lshrrev_b32_e32 v2, s92, v31
	v_and_b32_e32 v3, s9, v2
	v_mul_lo_u32 v2, v3, 20
	v_and_b32_e32 v4, 1, v3
	; wave barrier
	v_lshl_add_u32 v35, v20, 2, v2
	v_add_co_u32_e32 v2, vcc, -1, v4
	v_addc_co_u32_e64 v37, s[0:1], 0, -1, vcc
	v_cmp_ne_u32_e32 vcc, 0, v4
	v_xor_b32_e32 v2, vcc_lo, v2
	v_xor_b32_e32 v4, vcc_hi, v37
	v_and_b32_e32 v37, exec_lo, v2
	v_lshlrev_b32_e32 v2, 30, v3
	v_cmp_gt_i64_e32 vcc, 0, v[1:2]
	v_not_b32_e32 v2, v2
	v_ashrrev_i32_e32 v2, 31, v2
	v_xor_b32_e32 v38, vcc_hi, v2
	v_xor_b32_e32 v2, vcc_lo, v2
	v_and_b32_e32 v37, v37, v2
	v_lshlrev_b32_e32 v2, 29, v3
	v_cmp_gt_i64_e32 vcc, 0, v[1:2]
	v_not_b32_e32 v2, v2
	v_and_b32_e32 v4, exec_hi, v4
	v_ashrrev_i32_e32 v2, 31, v2
	v_and_b32_e32 v4, v4, v38
	v_xor_b32_e32 v38, vcc_hi, v2
	v_xor_b32_e32 v2, vcc_lo, v2
	v_and_b32_e32 v37, v37, v2
	v_lshlrev_b32_e32 v2, 28, v3
	v_cmp_gt_i64_e32 vcc, 0, v[1:2]
	v_not_b32_e32 v2, v2
	v_ashrrev_i32_e32 v2, 31, v2
	v_and_b32_e32 v4, v4, v38
	v_xor_b32_e32 v38, vcc_hi, v2
	v_xor_b32_e32 v2, vcc_lo, v2
	v_and_b32_e32 v37, v37, v2
	v_lshlrev_b32_e32 v2, 27, v3
	v_cmp_gt_i64_e32 vcc, 0, v[1:2]
	v_not_b32_e32 v2, v2
	;; [unrolled: 8-line block ×5, first 2 shown]
	v_ashrrev_i32_e32 v1, 31, v1
	v_xor_b32_e32 v2, vcc_hi, v1
	v_xor_b32_e32 v1, vcc_lo, v1
	ds_read_b32 v33, v35 offset:16
	v_and_b32_e32 v4, v4, v38
	v_and_b32_e32 v1, v37, v1
	;; [unrolled: 1-line block ×3, first 2 shown]
	v_mbcnt_lo_u32_b32 v3, v1, 0
	v_mbcnt_hi_u32_b32 v37, v2, v3
	v_cmp_ne_u64_e32 vcc, 0, v[1:2]
	v_cmp_eq_u32_e64 s[0:1], 0, v37
	s_and_b64 s[2:3], vcc, s[0:1]
	; wave barrier
	s_and_saveexec_b64 s[0:1], s[2:3]
	s_cbranch_execz .LBB24_231
; %bb.230:
	v_bcnt_u32_b32 v1, v1, 0
	v_bcnt_u32_b32 v1, v2, v1
	s_waitcnt lgkmcnt(0)
	v_add_u32_e32 v1, v33, v1
	ds_write_b32 v35, v1 offset:16
.LBB24_231:
	s_or_b64 exec, exec, s[0:1]
	v_xor_b32_e32 v36, 0x80000000, v36
	v_lshrrev_b32_e32 v1, s92, v36
	v_and_b32_e32 v3, s9, v1
	v_mul_lo_u32 v1, v3, 20
	v_and_b32_e32 v2, 1, v3
	v_add_co_u32_e32 v4, vcc, -1, v2
	v_addc_co_u32_e64 v42, s[0:1], 0, -1, vcc
	v_cmp_ne_u32_e32 vcc, 0, v2
	v_xor_b32_e32 v2, vcc_hi, v42
	v_lshl_add_u32 v40, v20, 2, v1
	v_mov_b32_e32 v1, 0
	v_and_b32_e32 v42, exec_hi, v2
	v_lshlrev_b32_e32 v2, 30, v3
	v_xor_b32_e32 v4, vcc_lo, v4
	v_cmp_gt_i64_e32 vcc, 0, v[1:2]
	v_not_b32_e32 v2, v2
	v_ashrrev_i32_e32 v2, 31, v2
	v_and_b32_e32 v4, exec_lo, v4
	v_xor_b32_e32 v43, vcc_hi, v2
	v_xor_b32_e32 v2, vcc_lo, v2
	v_and_b32_e32 v4, v4, v2
	v_lshlrev_b32_e32 v2, 29, v3
	v_cmp_gt_i64_e32 vcc, 0, v[1:2]
	v_not_b32_e32 v2, v2
	v_ashrrev_i32_e32 v2, 31, v2
	v_and_b32_e32 v42, v42, v43
	v_xor_b32_e32 v43, vcc_hi, v2
	v_xor_b32_e32 v2, vcc_lo, v2
	v_and_b32_e32 v4, v4, v2
	v_lshlrev_b32_e32 v2, 28, v3
	v_cmp_gt_i64_e32 vcc, 0, v[1:2]
	v_not_b32_e32 v2, v2
	v_ashrrev_i32_e32 v2, 31, v2
	v_and_b32_e32 v42, v42, v43
	;; [unrolled: 8-line block ×5, first 2 shown]
	v_xor_b32_e32 v43, vcc_hi, v2
	v_xor_b32_e32 v2, vcc_lo, v2
	v_and_b32_e32 v4, v4, v2
	v_lshlrev_b32_e32 v2, 24, v3
	v_cmp_gt_i64_e32 vcc, 0, v[1:2]
	v_not_b32_e32 v2, v2
	v_ashrrev_i32_e32 v2, 31, v2
	v_xor_b32_e32 v3, vcc_hi, v2
	v_xor_b32_e32 v2, vcc_lo, v2
	; wave barrier
	ds_read_b32 v38, v40 offset:16
	v_and_b32_e32 v42, v42, v43
	v_and_b32_e32 v2, v4, v2
	;; [unrolled: 1-line block ×3, first 2 shown]
	v_mbcnt_lo_u32_b32 v4, v2, 0
	v_mbcnt_hi_u32_b32 v42, v3, v4
	v_cmp_ne_u64_e32 vcc, 0, v[2:3]
	v_cmp_eq_u32_e64 s[0:1], 0, v42
	s_and_b64 s[2:3], vcc, s[0:1]
	; wave barrier
	s_and_saveexec_b64 s[0:1], s[2:3]
	s_cbranch_execz .LBB24_233
; %bb.232:
	v_bcnt_u32_b32 v2, v2, 0
	v_bcnt_u32_b32 v2, v3, v2
	s_waitcnt lgkmcnt(0)
	v_add_u32_e32 v2, v38, v2
	ds_write_b32 v40, v2 offset:16
.LBB24_233:
	s_or_b64 exec, exec, s[0:1]
	v_xor_b32_e32 v41, 0x80000000, v41
	v_lshrrev_b32_e32 v2, s92, v41
	v_and_b32_e32 v3, s9, v2
	v_mul_lo_u32 v2, v3, 20
	v_and_b32_e32 v4, 1, v3
	; wave barrier
	v_lshl_add_u32 v45, v20, 2, v2
	v_add_co_u32_e32 v2, vcc, -1, v4
	v_addc_co_u32_e64 v47, s[0:1], 0, -1, vcc
	v_cmp_ne_u32_e32 vcc, 0, v4
	v_xor_b32_e32 v2, vcc_lo, v2
	v_xor_b32_e32 v4, vcc_hi, v47
	v_and_b32_e32 v47, exec_lo, v2
	v_lshlrev_b32_e32 v2, 30, v3
	v_cmp_gt_i64_e32 vcc, 0, v[1:2]
	v_not_b32_e32 v2, v2
	v_ashrrev_i32_e32 v2, 31, v2
	v_xor_b32_e32 v48, vcc_hi, v2
	v_xor_b32_e32 v2, vcc_lo, v2
	v_and_b32_e32 v47, v47, v2
	v_lshlrev_b32_e32 v2, 29, v3
	v_cmp_gt_i64_e32 vcc, 0, v[1:2]
	v_not_b32_e32 v2, v2
	v_and_b32_e32 v4, exec_hi, v4
	v_ashrrev_i32_e32 v2, 31, v2
	v_and_b32_e32 v4, v4, v48
	v_xor_b32_e32 v48, vcc_hi, v2
	v_xor_b32_e32 v2, vcc_lo, v2
	v_and_b32_e32 v47, v47, v2
	v_lshlrev_b32_e32 v2, 28, v3
	v_cmp_gt_i64_e32 vcc, 0, v[1:2]
	v_not_b32_e32 v2, v2
	v_ashrrev_i32_e32 v2, 31, v2
	v_and_b32_e32 v4, v4, v48
	v_xor_b32_e32 v48, vcc_hi, v2
	v_xor_b32_e32 v2, vcc_lo, v2
	v_and_b32_e32 v47, v47, v2
	v_lshlrev_b32_e32 v2, 27, v3
	v_cmp_gt_i64_e32 vcc, 0, v[1:2]
	v_not_b32_e32 v2, v2
	;; [unrolled: 8-line block ×5, first 2 shown]
	v_ashrrev_i32_e32 v1, 31, v1
	v_xor_b32_e32 v2, vcc_hi, v1
	v_xor_b32_e32 v1, vcc_lo, v1
	ds_read_b32 v43, v45 offset:16
	v_and_b32_e32 v4, v4, v48
	v_and_b32_e32 v1, v47, v1
	;; [unrolled: 1-line block ×3, first 2 shown]
	v_mbcnt_lo_u32_b32 v3, v1, 0
	v_mbcnt_hi_u32_b32 v47, v2, v3
	v_cmp_ne_u64_e32 vcc, 0, v[1:2]
	v_cmp_eq_u32_e64 s[0:1], 0, v47
	s_and_b64 s[2:3], vcc, s[0:1]
	; wave barrier
	s_and_saveexec_b64 s[0:1], s[2:3]
	s_cbranch_execz .LBB24_235
; %bb.234:
	v_bcnt_u32_b32 v1, v1, 0
	v_bcnt_u32_b32 v1, v2, v1
	s_waitcnt lgkmcnt(0)
	v_add_u32_e32 v1, v43, v1
	ds_write_b32 v45, v1 offset:16
.LBB24_235:
	s_or_b64 exec, exec, s[0:1]
	v_xor_b32_e32 v46, 0x80000000, v46
	v_lshrrev_b32_e32 v1, s92, v46
	v_and_b32_e32 v3, s9, v1
	v_mul_lo_u32 v1, v3, 20
	v_and_b32_e32 v2, 1, v3
	v_add_co_u32_e32 v4, vcc, -1, v2
	v_addc_co_u32_e64 v52, s[0:1], 0, -1, vcc
	v_cmp_ne_u32_e32 vcc, 0, v2
	v_xor_b32_e32 v2, vcc_hi, v52
	v_lshl_add_u32 v50, v20, 2, v1
	v_mov_b32_e32 v1, 0
	v_and_b32_e32 v52, exec_hi, v2
	v_lshlrev_b32_e32 v2, 30, v3
	v_xor_b32_e32 v4, vcc_lo, v4
	v_cmp_gt_i64_e32 vcc, 0, v[1:2]
	v_not_b32_e32 v2, v2
	v_ashrrev_i32_e32 v2, 31, v2
	v_and_b32_e32 v4, exec_lo, v4
	v_xor_b32_e32 v53, vcc_hi, v2
	v_xor_b32_e32 v2, vcc_lo, v2
	v_and_b32_e32 v4, v4, v2
	v_lshlrev_b32_e32 v2, 29, v3
	v_cmp_gt_i64_e32 vcc, 0, v[1:2]
	v_not_b32_e32 v2, v2
	v_ashrrev_i32_e32 v2, 31, v2
	v_and_b32_e32 v52, v52, v53
	v_xor_b32_e32 v53, vcc_hi, v2
	v_xor_b32_e32 v2, vcc_lo, v2
	v_and_b32_e32 v4, v4, v2
	v_lshlrev_b32_e32 v2, 28, v3
	v_cmp_gt_i64_e32 vcc, 0, v[1:2]
	v_not_b32_e32 v2, v2
	v_ashrrev_i32_e32 v2, 31, v2
	v_and_b32_e32 v52, v52, v53
	;; [unrolled: 8-line block ×5, first 2 shown]
	v_xor_b32_e32 v53, vcc_hi, v2
	v_xor_b32_e32 v2, vcc_lo, v2
	v_and_b32_e32 v4, v4, v2
	v_lshlrev_b32_e32 v2, 24, v3
	v_cmp_gt_i64_e32 vcc, 0, v[1:2]
	v_not_b32_e32 v2, v2
	v_ashrrev_i32_e32 v2, 31, v2
	v_xor_b32_e32 v3, vcc_hi, v2
	v_xor_b32_e32 v2, vcc_lo, v2
	; wave barrier
	ds_read_b32 v48, v50 offset:16
	v_and_b32_e32 v52, v52, v53
	v_and_b32_e32 v2, v4, v2
	v_and_b32_e32 v3, v52, v3
	v_mbcnt_lo_u32_b32 v4, v2, 0
	v_mbcnt_hi_u32_b32 v52, v3, v4
	v_cmp_ne_u64_e32 vcc, 0, v[2:3]
	v_cmp_eq_u32_e64 s[0:1], 0, v52
	s_and_b64 s[2:3], vcc, s[0:1]
	; wave barrier
	s_and_saveexec_b64 s[0:1], s[2:3]
	s_cbranch_execz .LBB24_237
; %bb.236:
	v_bcnt_u32_b32 v2, v2, 0
	v_bcnt_u32_b32 v2, v3, v2
	s_waitcnt lgkmcnt(0)
	v_add_u32_e32 v2, v48, v2
	ds_write_b32 v50, v2 offset:16
.LBB24_237:
	s_or_b64 exec, exec, s[0:1]
	v_xor_b32_e32 v51, 0x80000000, v51
	v_lshrrev_b32_e32 v2, s92, v51
	v_and_b32_e32 v3, s9, v2
	v_mul_lo_u32 v2, v3, 20
	v_and_b32_e32 v4, 1, v3
	; wave barrier
	v_lshl_add_u32 v55, v20, 2, v2
	v_add_co_u32_e32 v2, vcc, -1, v4
	v_addc_co_u32_e64 v56, s[0:1], 0, -1, vcc
	v_cmp_ne_u32_e32 vcc, 0, v4
	v_xor_b32_e32 v2, vcc_lo, v2
	v_xor_b32_e32 v4, vcc_hi, v56
	v_and_b32_e32 v56, exec_lo, v2
	v_lshlrev_b32_e32 v2, 30, v3
	v_cmp_gt_i64_e32 vcc, 0, v[1:2]
	v_not_b32_e32 v2, v2
	v_ashrrev_i32_e32 v2, 31, v2
	v_xor_b32_e32 v57, vcc_hi, v2
	v_xor_b32_e32 v2, vcc_lo, v2
	v_and_b32_e32 v56, v56, v2
	v_lshlrev_b32_e32 v2, 29, v3
	v_cmp_gt_i64_e32 vcc, 0, v[1:2]
	v_not_b32_e32 v2, v2
	v_and_b32_e32 v4, exec_hi, v4
	v_ashrrev_i32_e32 v2, 31, v2
	v_and_b32_e32 v4, v4, v57
	v_xor_b32_e32 v57, vcc_hi, v2
	v_xor_b32_e32 v2, vcc_lo, v2
	v_and_b32_e32 v56, v56, v2
	v_lshlrev_b32_e32 v2, 28, v3
	v_cmp_gt_i64_e32 vcc, 0, v[1:2]
	v_not_b32_e32 v2, v2
	v_ashrrev_i32_e32 v2, 31, v2
	v_and_b32_e32 v4, v4, v57
	v_xor_b32_e32 v57, vcc_hi, v2
	v_xor_b32_e32 v2, vcc_lo, v2
	v_and_b32_e32 v56, v56, v2
	v_lshlrev_b32_e32 v2, 27, v3
	v_cmp_gt_i64_e32 vcc, 0, v[1:2]
	v_not_b32_e32 v2, v2
	;; [unrolled: 8-line block ×5, first 2 shown]
	v_ashrrev_i32_e32 v1, 31, v1
	v_xor_b32_e32 v2, vcc_hi, v1
	v_xor_b32_e32 v1, vcc_lo, v1
	ds_read_b32 v53, v55 offset:16
	v_and_b32_e32 v4, v4, v57
	v_and_b32_e32 v1, v56, v1
	;; [unrolled: 1-line block ×3, first 2 shown]
	v_mbcnt_lo_u32_b32 v3, v1, 0
	v_mbcnt_hi_u32_b32 v56, v2, v3
	v_cmp_ne_u64_e32 vcc, 0, v[1:2]
	v_cmp_eq_u32_e64 s[0:1], 0, v56
	s_and_b64 s[2:3], vcc, s[0:1]
	; wave barrier
	s_and_saveexec_b64 s[0:1], s[2:3]
	s_cbranch_execz .LBB24_239
; %bb.238:
	v_bcnt_u32_b32 v1, v1, 0
	v_bcnt_u32_b32 v1, v2, v1
	s_waitcnt lgkmcnt(0)
	v_add_u32_e32 v1, v53, v1
	ds_write_b32 v55, v1 offset:16
.LBB24_239:
	s_or_b64 exec, exec, s[0:1]
	v_xor_b32_e32 v54, 0x80000000, v54
	v_lshrrev_b32_e32 v1, s92, v54
	v_and_b32_e32 v3, s9, v1
	v_mul_lo_u32 v1, v3, 20
	v_and_b32_e32 v2, 1, v3
	v_add_co_u32_e32 v4, vcc, -1, v2
	v_addc_co_u32_e64 v59, s[0:1], 0, -1, vcc
	v_cmp_ne_u32_e32 vcc, 0, v2
	v_xor_b32_e32 v2, vcc_hi, v59
	v_lshl_add_u32 v58, v20, 2, v1
	v_mov_b32_e32 v1, 0
	v_and_b32_e32 v59, exec_hi, v2
	v_lshlrev_b32_e32 v2, 30, v3
	v_xor_b32_e32 v4, vcc_lo, v4
	v_cmp_gt_i64_e32 vcc, 0, v[1:2]
	v_not_b32_e32 v2, v2
	v_ashrrev_i32_e32 v2, 31, v2
	v_and_b32_e32 v4, exec_lo, v4
	v_xor_b32_e32 v60, vcc_hi, v2
	v_xor_b32_e32 v2, vcc_lo, v2
	v_and_b32_e32 v4, v4, v2
	v_lshlrev_b32_e32 v2, 29, v3
	v_cmp_gt_i64_e32 vcc, 0, v[1:2]
	v_not_b32_e32 v2, v2
	v_ashrrev_i32_e32 v2, 31, v2
	v_and_b32_e32 v59, v59, v60
	v_xor_b32_e32 v60, vcc_hi, v2
	v_xor_b32_e32 v2, vcc_lo, v2
	v_and_b32_e32 v4, v4, v2
	v_lshlrev_b32_e32 v2, 28, v3
	v_cmp_gt_i64_e32 vcc, 0, v[1:2]
	v_not_b32_e32 v2, v2
	v_ashrrev_i32_e32 v2, 31, v2
	v_and_b32_e32 v59, v59, v60
	v_xor_b32_e32 v60, vcc_hi, v2
	v_xor_b32_e32 v2, vcc_lo, v2
	v_and_b32_e32 v4, v4, v2
	v_lshlrev_b32_e32 v2, 27, v3
	v_cmp_gt_i64_e32 vcc, 0, v[1:2]
	v_not_b32_e32 v2, v2
	v_ashrrev_i32_e32 v2, 31, v2
	v_and_b32_e32 v59, v59, v60
	v_xor_b32_e32 v60, vcc_hi, v2
	v_xor_b32_e32 v2, vcc_lo, v2
	v_and_b32_e32 v4, v4, v2
	v_lshlrev_b32_e32 v2, 26, v3
	v_cmp_gt_i64_e32 vcc, 0, v[1:2]
	v_not_b32_e32 v2, v2
	v_ashrrev_i32_e32 v2, 31, v2
	v_and_b32_e32 v59, v59, v60
	v_xor_b32_e32 v60, vcc_hi, v2
	v_xor_b32_e32 v2, vcc_lo, v2
	v_and_b32_e32 v4, v4, v2
	v_lshlrev_b32_e32 v2, 25, v3
	v_cmp_gt_i64_e32 vcc, 0, v[1:2]
	v_not_b32_e32 v2, v2
	v_ashrrev_i32_e32 v2, 31, v2
	v_and_b32_e32 v59, v59, v60
	v_xor_b32_e32 v60, vcc_hi, v2
	v_xor_b32_e32 v2, vcc_lo, v2
	v_and_b32_e32 v4, v4, v2
	v_lshlrev_b32_e32 v2, 24, v3
	v_cmp_gt_i64_e32 vcc, 0, v[1:2]
	v_not_b32_e32 v2, v2
	v_ashrrev_i32_e32 v2, 31, v2
	v_xor_b32_e32 v3, vcc_hi, v2
	v_xor_b32_e32 v2, vcc_lo, v2
	; wave barrier
	ds_read_b32 v57, v58 offset:16
	v_and_b32_e32 v59, v59, v60
	v_and_b32_e32 v2, v4, v2
	;; [unrolled: 1-line block ×3, first 2 shown]
	v_mbcnt_lo_u32_b32 v4, v2, 0
	v_mbcnt_hi_u32_b32 v59, v3, v4
	v_cmp_ne_u64_e32 vcc, 0, v[2:3]
	v_cmp_eq_u32_e64 s[0:1], 0, v59
	s_and_b64 s[2:3], vcc, s[0:1]
	; wave barrier
	s_and_saveexec_b64 s[0:1], s[2:3]
	s_cbranch_execz .LBB24_241
; %bb.240:
	v_bcnt_u32_b32 v2, v2, 0
	v_bcnt_u32_b32 v2, v3, v2
	s_waitcnt lgkmcnt(0)
	v_add_u32_e32 v2, v57, v2
	ds_write_b32 v58, v2 offset:16
.LBB24_241:
	s_or_b64 exec, exec, s[0:1]
	v_xor_b32_e32 v49, 0x80000000, v49
	v_lshrrev_b32_e32 v2, s92, v49
	v_and_b32_e32 v3, s9, v2
	v_mul_lo_u32 v2, v3, 20
	v_and_b32_e32 v4, 1, v3
	; wave barrier
	v_lshl_add_u32 v61, v20, 2, v2
	v_add_co_u32_e32 v2, vcc, -1, v4
	v_addc_co_u32_e64 v62, s[0:1], 0, -1, vcc
	v_cmp_ne_u32_e32 vcc, 0, v4
	v_xor_b32_e32 v2, vcc_lo, v2
	v_xor_b32_e32 v4, vcc_hi, v62
	v_and_b32_e32 v62, exec_lo, v2
	v_lshlrev_b32_e32 v2, 30, v3
	v_cmp_gt_i64_e32 vcc, 0, v[1:2]
	v_not_b32_e32 v2, v2
	v_ashrrev_i32_e32 v2, 31, v2
	v_xor_b32_e32 v63, vcc_hi, v2
	v_xor_b32_e32 v2, vcc_lo, v2
	v_and_b32_e32 v62, v62, v2
	v_lshlrev_b32_e32 v2, 29, v3
	v_cmp_gt_i64_e32 vcc, 0, v[1:2]
	v_not_b32_e32 v2, v2
	v_and_b32_e32 v4, exec_hi, v4
	v_ashrrev_i32_e32 v2, 31, v2
	v_and_b32_e32 v4, v4, v63
	v_xor_b32_e32 v63, vcc_hi, v2
	v_xor_b32_e32 v2, vcc_lo, v2
	v_and_b32_e32 v62, v62, v2
	v_lshlrev_b32_e32 v2, 28, v3
	v_cmp_gt_i64_e32 vcc, 0, v[1:2]
	v_not_b32_e32 v2, v2
	v_ashrrev_i32_e32 v2, 31, v2
	v_and_b32_e32 v4, v4, v63
	v_xor_b32_e32 v63, vcc_hi, v2
	v_xor_b32_e32 v2, vcc_lo, v2
	v_and_b32_e32 v62, v62, v2
	v_lshlrev_b32_e32 v2, 27, v3
	v_cmp_gt_i64_e32 vcc, 0, v[1:2]
	v_not_b32_e32 v2, v2
	;; [unrolled: 8-line block ×5, first 2 shown]
	v_ashrrev_i32_e32 v1, 31, v1
	v_xor_b32_e32 v2, vcc_hi, v1
	v_xor_b32_e32 v1, vcc_lo, v1
	ds_read_b32 v60, v61 offset:16
	v_and_b32_e32 v4, v4, v63
	v_and_b32_e32 v1, v62, v1
	;; [unrolled: 1-line block ×3, first 2 shown]
	v_mbcnt_lo_u32_b32 v3, v1, 0
	v_mbcnt_hi_u32_b32 v62, v2, v3
	v_cmp_ne_u64_e32 vcc, 0, v[1:2]
	v_cmp_eq_u32_e64 s[0:1], 0, v62
	s_and_b64 s[2:3], vcc, s[0:1]
	; wave barrier
	s_and_saveexec_b64 s[0:1], s[2:3]
	s_cbranch_execz .LBB24_243
; %bb.242:
	v_bcnt_u32_b32 v1, v1, 0
	v_bcnt_u32_b32 v1, v2, v1
	s_waitcnt lgkmcnt(0)
	v_add_u32_e32 v1, v60, v1
	ds_write_b32 v61, v1 offset:16
.LBB24_243:
	s_or_b64 exec, exec, s[0:1]
	v_xor_b32_e32 v44, 0x80000000, v44
	v_lshrrev_b32_e32 v1, s92, v44
	v_and_b32_e32 v3, s9, v1
	v_mul_lo_u32 v1, v3, 20
	v_and_b32_e32 v2, 1, v3
	v_add_co_u32_e32 v4, vcc, -1, v2
	v_addc_co_u32_e64 v65, s[0:1], 0, -1, vcc
	v_cmp_ne_u32_e32 vcc, 0, v2
	v_xor_b32_e32 v2, vcc_hi, v65
	v_lshl_add_u32 v64, v20, 2, v1
	v_mov_b32_e32 v1, 0
	v_and_b32_e32 v65, exec_hi, v2
	v_lshlrev_b32_e32 v2, 30, v3
	v_xor_b32_e32 v4, vcc_lo, v4
	v_cmp_gt_i64_e32 vcc, 0, v[1:2]
	v_not_b32_e32 v2, v2
	v_ashrrev_i32_e32 v2, 31, v2
	v_and_b32_e32 v4, exec_lo, v4
	v_xor_b32_e32 v66, vcc_hi, v2
	v_xor_b32_e32 v2, vcc_lo, v2
	v_and_b32_e32 v4, v4, v2
	v_lshlrev_b32_e32 v2, 29, v3
	v_cmp_gt_i64_e32 vcc, 0, v[1:2]
	v_not_b32_e32 v2, v2
	v_ashrrev_i32_e32 v2, 31, v2
	v_and_b32_e32 v65, v65, v66
	v_xor_b32_e32 v66, vcc_hi, v2
	v_xor_b32_e32 v2, vcc_lo, v2
	v_and_b32_e32 v4, v4, v2
	v_lshlrev_b32_e32 v2, 28, v3
	v_cmp_gt_i64_e32 vcc, 0, v[1:2]
	v_not_b32_e32 v2, v2
	v_ashrrev_i32_e32 v2, 31, v2
	v_and_b32_e32 v65, v65, v66
	;; [unrolled: 8-line block ×5, first 2 shown]
	v_xor_b32_e32 v66, vcc_hi, v2
	v_xor_b32_e32 v2, vcc_lo, v2
	v_and_b32_e32 v4, v4, v2
	v_lshlrev_b32_e32 v2, 24, v3
	v_cmp_gt_i64_e32 vcc, 0, v[1:2]
	v_not_b32_e32 v2, v2
	v_ashrrev_i32_e32 v2, 31, v2
	v_xor_b32_e32 v3, vcc_hi, v2
	v_xor_b32_e32 v2, vcc_lo, v2
	; wave barrier
	ds_read_b32 v63, v64 offset:16
	v_and_b32_e32 v65, v65, v66
	v_and_b32_e32 v2, v4, v2
	;; [unrolled: 1-line block ×3, first 2 shown]
	v_mbcnt_lo_u32_b32 v4, v2, 0
	v_mbcnt_hi_u32_b32 v65, v3, v4
	v_cmp_ne_u64_e32 vcc, 0, v[2:3]
	v_cmp_eq_u32_e64 s[0:1], 0, v65
	s_and_b64 s[2:3], vcc, s[0:1]
	; wave barrier
	s_and_saveexec_b64 s[0:1], s[2:3]
	s_cbranch_execz .LBB24_245
; %bb.244:
	v_bcnt_u32_b32 v2, v2, 0
	v_bcnt_u32_b32 v2, v3, v2
	s_waitcnt lgkmcnt(0)
	v_add_u32_e32 v2, v63, v2
	ds_write_b32 v64, v2 offset:16
.LBB24_245:
	s_or_b64 exec, exec, s[0:1]
	v_xor_b32_e32 v39, 0x80000000, v39
	v_lshrrev_b32_e32 v2, s92, v39
	v_and_b32_e32 v3, s9, v2
	v_mul_lo_u32 v2, v3, 20
	v_and_b32_e32 v4, 1, v3
	; wave barrier
	v_lshl_add_u32 v67, v20, 2, v2
	v_add_co_u32_e32 v2, vcc, -1, v4
	v_addc_co_u32_e64 v68, s[0:1], 0, -1, vcc
	v_cmp_ne_u32_e32 vcc, 0, v4
	v_xor_b32_e32 v2, vcc_lo, v2
	v_xor_b32_e32 v4, vcc_hi, v68
	v_and_b32_e32 v68, exec_lo, v2
	v_lshlrev_b32_e32 v2, 30, v3
	v_cmp_gt_i64_e32 vcc, 0, v[1:2]
	v_not_b32_e32 v2, v2
	v_ashrrev_i32_e32 v2, 31, v2
	v_xor_b32_e32 v69, vcc_hi, v2
	v_xor_b32_e32 v2, vcc_lo, v2
	v_and_b32_e32 v68, v68, v2
	v_lshlrev_b32_e32 v2, 29, v3
	v_cmp_gt_i64_e32 vcc, 0, v[1:2]
	v_not_b32_e32 v2, v2
	v_and_b32_e32 v4, exec_hi, v4
	v_ashrrev_i32_e32 v2, 31, v2
	v_and_b32_e32 v4, v4, v69
	v_xor_b32_e32 v69, vcc_hi, v2
	v_xor_b32_e32 v2, vcc_lo, v2
	v_and_b32_e32 v68, v68, v2
	v_lshlrev_b32_e32 v2, 28, v3
	v_cmp_gt_i64_e32 vcc, 0, v[1:2]
	v_not_b32_e32 v2, v2
	v_ashrrev_i32_e32 v2, 31, v2
	v_and_b32_e32 v4, v4, v69
	v_xor_b32_e32 v69, vcc_hi, v2
	v_xor_b32_e32 v2, vcc_lo, v2
	v_and_b32_e32 v68, v68, v2
	v_lshlrev_b32_e32 v2, 27, v3
	v_cmp_gt_i64_e32 vcc, 0, v[1:2]
	v_not_b32_e32 v2, v2
	;; [unrolled: 8-line block ×5, first 2 shown]
	v_ashrrev_i32_e32 v1, 31, v1
	v_xor_b32_e32 v2, vcc_hi, v1
	v_xor_b32_e32 v1, vcc_lo, v1
	ds_read_b32 v66, v67 offset:16
	v_and_b32_e32 v4, v4, v69
	v_and_b32_e32 v1, v68, v1
	;; [unrolled: 1-line block ×3, first 2 shown]
	v_mbcnt_lo_u32_b32 v3, v1, 0
	v_mbcnt_hi_u32_b32 v69, v2, v3
	v_cmp_ne_u64_e32 vcc, 0, v[1:2]
	v_cmp_eq_u32_e64 s[0:1], 0, v69
	s_and_b64 s[2:3], vcc, s[0:1]
	; wave barrier
	s_and_saveexec_b64 s[0:1], s[2:3]
	s_cbranch_execz .LBB24_247
; %bb.246:
	v_bcnt_u32_b32 v1, v1, 0
	v_bcnt_u32_b32 v1, v2, v1
	s_waitcnt lgkmcnt(0)
	v_add_u32_e32 v1, v66, v1
	ds_write_b32 v67, v1 offset:16
.LBB24_247:
	s_or_b64 exec, exec, s[0:1]
	v_xor_b32_e32 v68, 0x80000000, v34
	v_lshrrev_b32_e32 v1, s92, v68
	v_and_b32_e32 v3, s9, v1
	v_mul_lo_u32 v1, v3, 20
	v_and_b32_e32 v2, 1, v3
	v_add_co_u32_e32 v4, vcc, -1, v2
	v_addc_co_u32_e64 v71, s[0:1], 0, -1, vcc
	v_cmp_ne_u32_e32 vcc, 0, v2
	v_xor_b32_e32 v2, vcc_hi, v71
	v_lshl_add_u32 v34, v20, 2, v1
	v_mov_b32_e32 v1, 0
	v_and_b32_e32 v71, exec_hi, v2
	v_lshlrev_b32_e32 v2, 30, v3
	v_xor_b32_e32 v4, vcc_lo, v4
	v_cmp_gt_i64_e32 vcc, 0, v[1:2]
	v_not_b32_e32 v2, v2
	v_ashrrev_i32_e32 v2, 31, v2
	v_and_b32_e32 v4, exec_lo, v4
	v_xor_b32_e32 v72, vcc_hi, v2
	v_xor_b32_e32 v2, vcc_lo, v2
	v_and_b32_e32 v4, v4, v2
	v_lshlrev_b32_e32 v2, 29, v3
	v_cmp_gt_i64_e32 vcc, 0, v[1:2]
	v_not_b32_e32 v2, v2
	v_ashrrev_i32_e32 v2, 31, v2
	v_and_b32_e32 v71, v71, v72
	v_xor_b32_e32 v72, vcc_hi, v2
	v_xor_b32_e32 v2, vcc_lo, v2
	v_and_b32_e32 v4, v4, v2
	v_lshlrev_b32_e32 v2, 28, v3
	v_cmp_gt_i64_e32 vcc, 0, v[1:2]
	v_not_b32_e32 v2, v2
	v_ashrrev_i32_e32 v2, 31, v2
	v_and_b32_e32 v71, v71, v72
	v_xor_b32_e32 v72, vcc_hi, v2
	v_xor_b32_e32 v2, vcc_lo, v2
	v_and_b32_e32 v4, v4, v2
	v_lshlrev_b32_e32 v2, 27, v3
	v_cmp_gt_i64_e32 vcc, 0, v[1:2]
	v_not_b32_e32 v2, v2
	v_ashrrev_i32_e32 v2, 31, v2
	v_and_b32_e32 v71, v71, v72
	v_xor_b32_e32 v72, vcc_hi, v2
	v_xor_b32_e32 v2, vcc_lo, v2
	v_and_b32_e32 v4, v4, v2
	v_lshlrev_b32_e32 v2, 26, v3
	v_cmp_gt_i64_e32 vcc, 0, v[1:2]
	v_not_b32_e32 v2, v2
	v_ashrrev_i32_e32 v2, 31, v2
	v_and_b32_e32 v71, v71, v72
	v_xor_b32_e32 v72, vcc_hi, v2
	v_xor_b32_e32 v2, vcc_lo, v2
	v_and_b32_e32 v4, v4, v2
	v_lshlrev_b32_e32 v2, 25, v3
	v_cmp_gt_i64_e32 vcc, 0, v[1:2]
	v_not_b32_e32 v2, v2
	v_ashrrev_i32_e32 v2, 31, v2
	v_and_b32_e32 v71, v71, v72
	v_xor_b32_e32 v72, vcc_hi, v2
	v_xor_b32_e32 v2, vcc_lo, v2
	v_and_b32_e32 v4, v4, v2
	v_lshlrev_b32_e32 v2, 24, v3
	v_cmp_gt_i64_e32 vcc, 0, v[1:2]
	v_not_b32_e32 v2, v2
	v_ashrrev_i32_e32 v2, 31, v2
	v_xor_b32_e32 v3, vcc_hi, v2
	v_xor_b32_e32 v2, vcc_lo, v2
	; wave barrier
	ds_read_b32 v70, v34 offset:16
	v_and_b32_e32 v71, v71, v72
	v_and_b32_e32 v2, v4, v2
	;; [unrolled: 1-line block ×3, first 2 shown]
	v_mbcnt_lo_u32_b32 v4, v2, 0
	v_mbcnt_hi_u32_b32 v72, v3, v4
	v_cmp_ne_u64_e32 vcc, 0, v[2:3]
	v_cmp_eq_u32_e64 s[0:1], 0, v72
	s_and_b64 s[2:3], vcc, s[0:1]
	; wave barrier
	s_and_saveexec_b64 s[0:1], s[2:3]
	s_cbranch_execz .LBB24_249
; %bb.248:
	v_bcnt_u32_b32 v2, v2, 0
	v_bcnt_u32_b32 v2, v3, v2
	s_waitcnt lgkmcnt(0)
	v_add_u32_e32 v2, v70, v2
	ds_write_b32 v34, v2 offset:16
.LBB24_249:
	s_or_b64 exec, exec, s[0:1]
	v_xor_b32_e32 v71, 0x80000000, v29
	v_lshrrev_b32_e32 v2, s92, v71
	v_and_b32_e32 v3, s9, v2
	v_mul_lo_u32 v2, v3, 20
	v_and_b32_e32 v4, 1, v3
	; wave barrier
	v_lshl_add_u32 v29, v20, 2, v2
	v_add_co_u32_e32 v2, vcc, -1, v4
	v_addc_co_u32_e64 v74, s[0:1], 0, -1, vcc
	v_cmp_ne_u32_e32 vcc, 0, v4
	v_xor_b32_e32 v2, vcc_lo, v2
	v_xor_b32_e32 v4, vcc_hi, v74
	v_and_b32_e32 v74, exec_lo, v2
	v_lshlrev_b32_e32 v2, 30, v3
	v_cmp_gt_i64_e32 vcc, 0, v[1:2]
	v_not_b32_e32 v2, v2
	v_ashrrev_i32_e32 v2, 31, v2
	v_xor_b32_e32 v75, vcc_hi, v2
	v_xor_b32_e32 v2, vcc_lo, v2
	v_and_b32_e32 v74, v74, v2
	v_lshlrev_b32_e32 v2, 29, v3
	v_cmp_gt_i64_e32 vcc, 0, v[1:2]
	v_not_b32_e32 v2, v2
	v_and_b32_e32 v4, exec_hi, v4
	v_ashrrev_i32_e32 v2, 31, v2
	v_and_b32_e32 v4, v4, v75
	v_xor_b32_e32 v75, vcc_hi, v2
	v_xor_b32_e32 v2, vcc_lo, v2
	v_and_b32_e32 v74, v74, v2
	v_lshlrev_b32_e32 v2, 28, v3
	v_cmp_gt_i64_e32 vcc, 0, v[1:2]
	v_not_b32_e32 v2, v2
	v_ashrrev_i32_e32 v2, 31, v2
	v_and_b32_e32 v4, v4, v75
	v_xor_b32_e32 v75, vcc_hi, v2
	v_xor_b32_e32 v2, vcc_lo, v2
	v_and_b32_e32 v74, v74, v2
	v_lshlrev_b32_e32 v2, 27, v3
	v_cmp_gt_i64_e32 vcc, 0, v[1:2]
	v_not_b32_e32 v2, v2
	;; [unrolled: 8-line block ×5, first 2 shown]
	v_ashrrev_i32_e32 v1, 31, v1
	v_xor_b32_e32 v2, vcc_hi, v1
	v_xor_b32_e32 v1, vcc_lo, v1
	ds_read_b32 v73, v29 offset:16
	v_and_b32_e32 v4, v4, v75
	v_and_b32_e32 v1, v74, v1
	;; [unrolled: 1-line block ×3, first 2 shown]
	v_mbcnt_lo_u32_b32 v3, v1, 0
	v_mbcnt_hi_u32_b32 v76, v2, v3
	v_cmp_ne_u64_e32 vcc, 0, v[1:2]
	v_cmp_eq_u32_e64 s[0:1], 0, v76
	s_and_b64 s[2:3], vcc, s[0:1]
	; wave barrier
	s_and_saveexec_b64 s[0:1], s[2:3]
	s_cbranch_execz .LBB24_251
; %bb.250:
	v_bcnt_u32_b32 v1, v1, 0
	v_bcnt_u32_b32 v1, v2, v1
	s_waitcnt lgkmcnt(0)
	v_add_u32_e32 v1, v73, v1
	ds_write_b32 v29, v1 offset:16
.LBB24_251:
	s_or_b64 exec, exec, s[0:1]
	v_xor_b32_e32 v75, 0x80000000, v24
	v_lshrrev_b32_e32 v1, s92, v75
	v_and_b32_e32 v3, s9, v1
	v_mul_lo_u32 v1, v3, 20
	v_and_b32_e32 v2, 1, v3
	v_add_co_u32_e32 v4, vcc, -1, v2
	v_addc_co_u32_e64 v74, s[0:1], 0, -1, vcc
	v_cmp_ne_u32_e32 vcc, 0, v2
	v_xor_b32_e32 v2, vcc_hi, v74
	v_lshl_add_u32 v24, v20, 2, v1
	v_mov_b32_e32 v1, 0
	v_and_b32_e32 v74, exec_hi, v2
	v_lshlrev_b32_e32 v2, 30, v3
	v_xor_b32_e32 v4, vcc_lo, v4
	v_cmp_gt_i64_e32 vcc, 0, v[1:2]
	v_not_b32_e32 v2, v2
	v_ashrrev_i32_e32 v2, 31, v2
	v_and_b32_e32 v4, exec_lo, v4
	v_xor_b32_e32 v78, vcc_hi, v2
	v_xor_b32_e32 v2, vcc_lo, v2
	v_and_b32_e32 v4, v4, v2
	v_lshlrev_b32_e32 v2, 29, v3
	v_cmp_gt_i64_e32 vcc, 0, v[1:2]
	v_not_b32_e32 v2, v2
	v_ashrrev_i32_e32 v2, 31, v2
	v_and_b32_e32 v74, v74, v78
	v_xor_b32_e32 v78, vcc_hi, v2
	v_xor_b32_e32 v2, vcc_lo, v2
	v_and_b32_e32 v4, v4, v2
	v_lshlrev_b32_e32 v2, 28, v3
	v_cmp_gt_i64_e32 vcc, 0, v[1:2]
	v_not_b32_e32 v2, v2
	v_ashrrev_i32_e32 v2, 31, v2
	v_and_b32_e32 v74, v74, v78
	;; [unrolled: 8-line block ×5, first 2 shown]
	v_xor_b32_e32 v78, vcc_hi, v2
	v_xor_b32_e32 v2, vcc_lo, v2
	v_and_b32_e32 v4, v4, v2
	v_lshlrev_b32_e32 v2, 24, v3
	v_cmp_gt_i64_e32 vcc, 0, v[1:2]
	v_not_b32_e32 v2, v2
	v_ashrrev_i32_e32 v2, 31, v2
	v_xor_b32_e32 v3, vcc_hi, v2
	v_xor_b32_e32 v2, vcc_lo, v2
	; wave barrier
	ds_read_b32 v77, v24 offset:16
	v_and_b32_e32 v74, v74, v78
	v_and_b32_e32 v2, v4, v2
	;; [unrolled: 1-line block ×3, first 2 shown]
	v_mbcnt_lo_u32_b32 v4, v2, 0
	v_mbcnt_hi_u32_b32 v79, v3, v4
	v_cmp_ne_u64_e32 vcc, 0, v[2:3]
	v_cmp_eq_u32_e64 s[0:1], 0, v79
	s_and_b64 s[2:3], vcc, s[0:1]
	; wave barrier
	s_and_saveexec_b64 s[0:1], s[2:3]
	s_cbranch_execz .LBB24_253
; %bb.252:
	v_bcnt_u32_b32 v2, v2, 0
	v_bcnt_u32_b32 v2, v3, v2
	s_waitcnt lgkmcnt(0)
	v_add_u32_e32 v2, v77, v2
	ds_write_b32 v24, v2 offset:16
.LBB24_253:
	s_or_b64 exec, exec, s[0:1]
	v_xor_b32_e32 v78, 0x80000000, v18
	v_lshrrev_b32_e32 v2, s92, v78
	v_and_b32_e32 v3, s9, v2
	v_mul_lo_u32 v2, v3, 20
	v_and_b32_e32 v4, 1, v3
	; wave barrier
	v_lshl_add_u32 v18, v20, 2, v2
	v_add_co_u32_e32 v2, vcc, -1, v4
	v_addc_co_u32_e64 v20, s[0:1], 0, -1, vcc
	v_cmp_ne_u32_e32 vcc, 0, v4
	v_xor_b32_e32 v2, vcc_lo, v2
	v_xor_b32_e32 v4, vcc_hi, v20
	v_and_b32_e32 v20, exec_lo, v2
	v_lshlrev_b32_e32 v2, 30, v3
	v_cmp_gt_i64_e32 vcc, 0, v[1:2]
	v_not_b32_e32 v2, v2
	v_ashrrev_i32_e32 v2, 31, v2
	v_xor_b32_e32 v74, vcc_hi, v2
	v_xor_b32_e32 v2, vcc_lo, v2
	v_and_b32_e32 v20, v20, v2
	v_lshlrev_b32_e32 v2, 29, v3
	v_cmp_gt_i64_e32 vcc, 0, v[1:2]
	v_not_b32_e32 v2, v2
	v_and_b32_e32 v4, exec_hi, v4
	v_ashrrev_i32_e32 v2, 31, v2
	v_and_b32_e32 v4, v4, v74
	v_xor_b32_e32 v74, vcc_hi, v2
	v_xor_b32_e32 v2, vcc_lo, v2
	v_and_b32_e32 v20, v20, v2
	v_lshlrev_b32_e32 v2, 28, v3
	v_cmp_gt_i64_e32 vcc, 0, v[1:2]
	v_not_b32_e32 v2, v2
	v_ashrrev_i32_e32 v2, 31, v2
	v_and_b32_e32 v4, v4, v74
	v_xor_b32_e32 v74, vcc_hi, v2
	v_xor_b32_e32 v2, vcc_lo, v2
	v_and_b32_e32 v20, v20, v2
	v_lshlrev_b32_e32 v2, 27, v3
	v_cmp_gt_i64_e32 vcc, 0, v[1:2]
	v_not_b32_e32 v2, v2
	;; [unrolled: 8-line block ×5, first 2 shown]
	v_ashrrev_i32_e32 v1, 31, v1
	v_xor_b32_e32 v2, vcc_hi, v1
	v_xor_b32_e32 v1, vcc_lo, v1
	ds_read_b32 v80, v18 offset:16
	v_and_b32_e32 v4, v4, v74
	v_and_b32_e32 v1, v20, v1
	;; [unrolled: 1-line block ×3, first 2 shown]
	v_mbcnt_lo_u32_b32 v3, v1, 0
	v_mbcnt_hi_u32_b32 v81, v2, v3
	v_cmp_ne_u64_e32 vcc, 0, v[1:2]
	v_cmp_eq_u32_e64 s[0:1], 0, v81
	s_and_b64 s[2:3], vcc, s[0:1]
	; wave barrier
	s_and_saveexec_b64 s[0:1], s[2:3]
	s_cbranch_execz .LBB24_255
; %bb.254:
	v_bcnt_u32_b32 v1, v1, 0
	v_bcnt_u32_b32 v1, v2, v1
	s_waitcnt lgkmcnt(0)
	v_add_u32_e32 v1, v80, v1
	ds_write_b32 v18, v1 offset:16
.LBB24_255:
	s_or_b64 exec, exec, s[0:1]
	; wave barrier
	s_waitcnt lgkmcnt(0)
	s_barrier
	ds_read2_b32 v[3:4], v6 offset0:4 offset1:5
	ds_read2_b32 v[1:2], v6 offset0:6 offset1:7
	ds_read_b32 v20, v6 offset:32
	v_min_u32_e32 v9, 0xc0, v9
	v_or_b32_e32 v9, 63, v9
	s_waitcnt lgkmcnt(1)
	v_add3_u32 v74, v4, v3, v1
	s_waitcnt lgkmcnt(0)
	v_add3_u32 v20, v74, v2, v20
	v_and_b32_e32 v74, 15, v8
	v_cmp_ne_u32_e32 vcc, 0, v74
	v_mov_b32_dpp v82, v20 row_shr:1 row_mask:0xf bank_mask:0xf
	v_cndmask_b32_e32 v82, 0, v82, vcc
	v_add_u32_e32 v20, v82, v20
	v_cmp_lt_u32_e32 vcc, 1, v74
	s_nop 0
	v_mov_b32_dpp v82, v20 row_shr:2 row_mask:0xf bank_mask:0xf
	v_cndmask_b32_e32 v82, 0, v82, vcc
	v_add_u32_e32 v20, v20, v82
	v_cmp_lt_u32_e32 vcc, 3, v74
	s_nop 0
	;; [unrolled: 5-line block ×3, first 2 shown]
	v_mov_b32_dpp v82, v20 row_shr:8 row_mask:0xf bank_mask:0xf
	v_cndmask_b32_e32 v74, 0, v82, vcc
	v_add_u32_e32 v20, v20, v74
	v_bfe_i32 v82, v8, 4, 1
	v_cmp_lt_u32_e32 vcc, 31, v8
	v_mov_b32_dpp v74, v20 row_bcast:15 row_mask:0xf bank_mask:0xf
	v_and_b32_e32 v74, v82, v74
	v_add_u32_e32 v20, v20, v74
	v_lshrrev_b32_e32 v82, 6, v0
	s_nop 0
	v_mov_b32_dpp v74, v20 row_bcast:31 row_mask:0xf bank_mask:0xf
	v_cndmask_b32_e32 v74, 0, v74, vcc
	v_add_u32_e32 v20, v20, v74
	v_cmp_eq_u32_e32 vcc, v0, v9
	s_and_saveexec_b64 s[0:1], vcc
; %bb.256:
	v_lshlrev_b32_e32 v9, 2, v82
	ds_write_b32 v9, v20
; %bb.257:
	s_or_b64 exec, exec, s[0:1]
	v_cmp_gt_u32_e32 vcc, 4, v0
	v_lshlrev_b32_e32 v74, 2, v0
	s_waitcnt lgkmcnt(0)
	s_barrier
	s_and_saveexec_b64 s[0:1], vcc
	s_cbranch_execz .LBB24_259
; %bb.258:
	ds_read_b32 v9, v74
	v_and_b32_e32 v83, 3, v8
	v_cmp_ne_u32_e32 vcc, 0, v83
	s_waitcnt lgkmcnt(0)
	v_mov_b32_dpp v84, v9 row_shr:1 row_mask:0xf bank_mask:0xf
	v_cndmask_b32_e32 v84, 0, v84, vcc
	v_add_u32_e32 v9, v84, v9
	v_cmp_lt_u32_e32 vcc, 1, v83
	s_nop 0
	v_mov_b32_dpp v84, v9 row_shr:2 row_mask:0xf bank_mask:0xf
	v_cndmask_b32_e32 v83, 0, v84, vcc
	v_add_u32_e32 v9, v9, v83
	ds_write_b32 v74, v9
.LBB24_259:
	s_or_b64 exec, exec, s[0:1]
	v_cmp_lt_u32_e32 vcc, 63, v0
	v_mov_b32_e32 v9, 0
	s_waitcnt lgkmcnt(0)
	s_barrier
	s_and_saveexec_b64 s[0:1], vcc
; %bb.260:
	v_lshl_add_u32 v9, v82, 2, -4
	ds_read_b32 v9, v9
; %bb.261:
	s_or_b64 exec, exec, s[0:1]
	v_add_u32_e32 v82, -1, v8
	v_and_b32_e32 v83, 64, v8
	v_cmp_lt_i32_e32 vcc, v82, v83
	v_cndmask_b32_e32 v82, v82, v8, vcc
	s_waitcnt lgkmcnt(0)
	v_add_u32_e32 v20, v9, v20
	v_lshlrev_b32_e32 v82, 2, v82
	ds_bpermute_b32 v20, v82, v20
	v_cmp_eq_u32_e32 vcc, 0, v8
	s_movk_i32 s0, 0x100
	s_waitcnt lgkmcnt(0)
	v_cndmask_b32_e32 v9, v20, v9, vcc
	v_cmp_ne_u32_e32 vcc, 0, v0
	v_cndmask_b32_e32 v9, 0, v9, vcc
	v_add_u32_e32 v3, v9, v3
	v_add_u32_e32 v4, v3, v4
	;; [unrolled: 1-line block ×4, first 2 shown]
	ds_write2_b32 v6, v9, v3 offset0:4 offset1:5
	ds_write2_b32 v6, v4, v1 offset0:6 offset1:7
	ds_write_b32 v6, v2 offset:32
	s_waitcnt lgkmcnt(0)
	s_barrier
	ds_read_b32 v2, v45 offset:16
	ds_read_b32 v3, v50 offset:16
	;; [unrolled: 1-line block ×19, first 2 shown]
	v_add_u32_e32 v6, 1, v0
	v_cmp_ne_u32_e32 vcc, s0, v6
	v_mov_b32_e32 v1, 0x1200
	s_and_saveexec_b64 s[0:1], vcc
; %bb.262:
	v_mul_u32_u24_e32 v1, 20, v6
	ds_read_b32 v1, v1 offset:16
; %bb.263:
	s_or_b64 exec, exec, s[0:1]
	s_waitcnt lgkmcnt(7)
	v_add_u32_e32 v35, v10, v12
	s_waitcnt lgkmcnt(6)
	v_add3_u32 v34, v16, v13, v14
	s_waitcnt lgkmcnt(3)
	v_add3_u32 v28, v32, v28, v24
	v_add3_u32 v24, v47, v43, v2
	v_lshlrev_b32_e32 v2, 2, v35
	v_add3_u32 v30, v22, v17, v18
	s_waitcnt lgkmcnt(0)
	s_barrier
	ds_write_b32 v2, v5 offset:2048
	v_lshlrev_b32_e32 v2, 2, v34
	v_add3_u32 v29, v27, v23, v19
	ds_write_b32 v2, v11 offset:2048
	v_lshlrev_b32_e32 v2, 2, v30
	ds_write_b32 v2, v15 offset:2048
	v_lshlrev_b32_e32 v2, 2, v29
	v_add3_u32 v27, v37, v33, v25
	ds_write_b32 v2, v21 offset:2048
	v_lshlrev_b32_e32 v2, 2, v28
	v_add3_u32 v25, v42, v38, v40
	ds_write_b32 v2, v26 offset:2048
	v_lshlrev_b32_e32 v2, 2, v27
	ds_write_b32 v2, v31 offset:2048
	v_lshlrev_b32_e32 v2, 2, v25
	v_add3_u32 v23, v52, v48, v3
	ds_write_b32 v2, v36 offset:2048
	v_lshlrev_b32_e32 v2, 2, v24
	v_add3_u32 v22, v56, v53, v4
	ds_write_b32 v2, v41 offset:2048
	v_lshlrev_b32_e32 v2, 2, v23
	v_add3_u32 v20, v59, v57, v20
	ds_write_b32 v2, v46 offset:2048
	v_lshlrev_b32_e32 v2, 2, v22
	v_add3_u32 v19, v62, v60, v45
	ds_write_b32 v2, v51 offset:2048
	v_lshlrev_b32_e32 v2, 2, v20
	v_add3_u32 v18, v65, v63, v50
	ds_write_b32 v2, v54 offset:2048
	v_lshlrev_b32_e32 v2, 2, v19
	v_add3_u32 v17, v69, v66, v55
	ds_write_b32 v2, v49 offset:2048
	v_lshlrev_b32_e32 v2, 2, v18
	v_add3_u32 v16, v72, v70, v58
	ds_write_b32 v2, v44 offset:2048
	v_lshlrev_b32_e32 v2, 2, v17
	v_add3_u32 v14, v76, v73, v61
	ds_write_b32 v2, v39 offset:2048
	v_lshlrev_b32_e32 v2, 2, v16
	v_add3_u32 v13, v79, v77, v64
	ds_write_b32 v2, v68 offset:2048
	v_lshlrev_b32_e32 v2, 2, v14
	v_add3_u32 v12, v81, v80, v67
	ds_write_b32 v2, v71 offset:2048
	v_lshlrev_b32_e32 v2, 2, v13
	ds_write_b32 v2, v75 offset:2048
	v_lshlrev_b32_e32 v2, 2, v12
	ds_write_b32 v2, v78 offset:2048
	v_sub_u32_e32 v10, v1, v9
	v_lshl_or_b32 v1, s6, 8, v0
	v_mov_b32_e32 v2, 0
	v_lshlrev_b64 v[3:4], 2, v[1:2]
	v_mov_b32_e32 v15, s89
	v_add_co_u32_e32 v3, vcc, s88, v3
	v_addc_co_u32_e32 v4, vcc, v15, v4, vcc
	v_or_b32_e32 v1, 2.0, v10
	s_mov_b64 s[0:1], 0
	s_brev_b32 s10, -4
	v_mov_b32_e32 v11, 0
	s_waitcnt lgkmcnt(0)
	s_barrier
	global_store_dword v[3:4], v1, off
                                        ; implicit-def: $sgpr2_sgpr3
	s_branch .LBB24_266
.LBB24_264:                             ;   in Loop: Header=BB24_266 Depth=1
	s_or_b64 exec, exec, s[4:5]
.LBB24_265:                             ;   in Loop: Header=BB24_266 Depth=1
	s_or_b64 exec, exec, s[2:3]
	v_and_b32_e32 v5, 0x3fffffff, v1
	v_add_u32_e32 v11, v5, v11
	v_cmp_gt_i32_e64 s[2:3], -2.0, v1
	s_and_b64 s[4:5], exec, s[2:3]
	s_or_b64 s[0:1], s[4:5], s[0:1]
	s_andn2_b64 exec, exec, s[0:1]
	s_cbranch_execz .LBB24_271
.LBB24_266:                             ; =>This Loop Header: Depth=1
                                        ;     Child Loop BB24_269 Depth 2
	s_or_b64 s[2:3], s[2:3], exec
	s_cmp_eq_u32 s7, 0
	s_cbranch_scc1 .LBB24_270
; %bb.267:                              ;   in Loop: Header=BB24_266 Depth=1
	s_add_i32 s7, s7, -1
	v_lshl_or_b32 v1, s7, 8, v0
	v_lshlrev_b64 v[5:6], 2, v[1:2]
	v_add_co_u32_e32 v5, vcc, s88, v5
	v_addc_co_u32_e32 v6, vcc, v15, v6, vcc
	global_load_dword v1, v[5:6], off glc
	s_waitcnt vmcnt(0)
	v_cmp_gt_u32_e32 vcc, 2.0, v1
	s_and_saveexec_b64 s[2:3], vcc
	s_cbranch_execz .LBB24_265
; %bb.268:                              ;   in Loop: Header=BB24_266 Depth=1
	s_mov_b64 s[4:5], 0
.LBB24_269:                             ;   Parent Loop BB24_266 Depth=1
                                        ; =>  This Inner Loop Header: Depth=2
	global_load_dword v1, v[5:6], off glc
	s_waitcnt vmcnt(0)
	v_cmp_lt_u32_e32 vcc, s10, v1
	s_or_b64 s[4:5], vcc, s[4:5]
	s_andn2_b64 exec, exec, s[4:5]
	s_cbranch_execnz .LBB24_269
	s_branch .LBB24_264
.LBB24_270:                             ;   in Loop: Header=BB24_266 Depth=1
                                        ; implicit-def: $sgpr7
	s_and_b64 s[4:5], exec, s[2:3]
	s_or_b64 s[0:1], s[4:5], s[0:1]
	s_andn2_b64 exec, exec, s[0:1]
	s_cbranch_execnz .LBB24_266
.LBB24_271:
	s_or_b64 exec, exec, s[0:1]
	v_add_u32_e32 v2, v11, v10
	v_or_b32_e32 v2, 0x80000000, v2
	v_readlane_b32 s0, v88, 0
	v_lshlrev_b32_e32 v1, 3, v0
	global_store_dword v[3:4], v2, off
	v_readlane_b32 s1, v88, 1
	v_sub_co_u32_e32 v4, vcc, v11, v9
	v_sub_u32_e32 v51, v1, v74
	v_mov_b32_e32 v6, s83
	v_mov_b32_e32 v11, s83
	s_nop 0
	global_load_dwordx2 v[2:3], v1, s[0:1]
	v_subb_co_u32_e64 v5, s[0:1], 0, 0, vcc
	v_mov_b32_e32 v15, s83
	v_mov_b32_e32 v21, s83
	;; [unrolled: 1-line block ×3, first 2 shown]
	s_lshl_b64 s[0:1], s[78:79], 1
	s_add_u32 s0, s84, s0
	s_addc_u32 s1, s85, s1
	v_lshlrev_b32_e32 v8, 1, v8
	v_lshlrev_b32_e32 v7, 1, v7
	v_or_b32_e32 v62, 0xf00, v0
	v_lshlrev_b32_e32 v70, 2, v62
	v_mov_b32_e32 v73, s83
	s_add_i32 s8, s8, -1
	v_readlane_b32 s2, v88, 2
	v_readlane_b32 s3, v88, 3
	s_cmp_lg_u32 s6, s8
	s_waitcnt vmcnt(0)
	v_add_co_u32_e32 v2, vcc, v4, v2
	v_addc_co_u32_e32 v3, vcc, v5, v3, vcc
	ds_write_b64 v1, v[2:3]
	s_waitcnt lgkmcnt(0)
	s_barrier
	ds_read2st64_b32 v[2:3], v51 offset0:8 offset1:12
	ds_read2st64_b32 v[4:5], v51 offset0:16 offset1:20
	;; [unrolled: 1-line block ×4, first 2 shown]
	s_waitcnt lgkmcnt(2)
	v_xor_b32_e32 v49, 0x80000000, v4
	v_lshrrev_b32_e32 v26, s92, v2
	v_xor_b32_e32 v33, 0x80000000, v2
	v_lshrrev_b32_e32 v2, s92, v3
	;; [unrolled: 2-line block ×3, first 2 shown]
	v_lshrrev_b32_e32 v4, s92, v5
	v_xor_b32_e32 v50, 0x80000000, v5
	s_waitcnt lgkmcnt(1)
	v_lshrrev_b32_e32 v5, s92, v31
	v_lshrrev_b32_e32 v38, s92, v32
	s_waitcnt lgkmcnt(0)
	v_lshrrev_b32_e32 v39, s92, v36
	v_lshrrev_b32_e32 v40, s92, v37
	v_and_b32_e32 v26, s9, v26
	v_and_b32_e32 v2, s9, v2
	v_and_b32_e32 v3, s9, v3
	v_and_b32_e32 v4, s9, v4
	v_and_b32_e32 v5, s9, v5
	v_and_b32_e32 v38, s9, v38
	v_and_b32_e32 v39, s9, v39
	v_and_b32_e32 v40, s9, v40
	v_lshlrev_b32_e32 v52, 3, v26
	v_lshlrev_b32_e32 v53, 3, v2
	;; [unrolled: 1-line block ×8, first 2 shown]
	ds_read_b64 v[38:39], v52
	ds_read_b64 v[40:41], v53
	ds_read_b64 v[42:43], v54
	ds_read_b64 v[44:45], v55
	ds_read_b64 v[46:47], v4
	s_waitcnt lgkmcnt(4)
	v_lshlrev_b64 v[38:39], 2, v[38:39]
	s_waitcnt lgkmcnt(3)
	v_lshlrev_b64 v[40:41], 2, v[40:41]
	v_add_co_u32_e32 v26, vcc, s82, v38
	v_addc_co_u32_e32 v6, vcc, v6, v39, vcc
	s_waitcnt lgkmcnt(2)
	v_lshlrev_b64 v[42:43], 2, v[42:43]
	v_add_co_u32_e32 v40, vcc, s82, v40
	v_addc_co_u32_e32 v11, vcc, v11, v41, vcc
	;; [unrolled: 4-line block ×3, first 2 shown]
	v_add_co_u32_e32 v44, vcc, s82, v44
	v_addc_co_u32_e32 v21, vcc, v21, v45, vcc
	v_add_co_u32_e32 v38, vcc, v26, v74
	v_addc_co_u32_e32 v39, vcc, 0, v6, vcc
	;; [unrolled: 2-line block ×5, first 2 shown]
	global_store_dword v[38:39], v33, off
	global_store_dword v[40:41], v48, off offset:1024
	global_store_dword v[42:43], v49, off offset:2048
	;; [unrolled: 1-line block ×3, first 2 shown]
	s_waitcnt lgkmcnt(0)
	v_lshlrev_b64 v[44:45], 2, v[46:47]
	v_mov_b32_e32 v6, s83
	v_add_co_u32_e32 v11, vcc, s82, v44
	ds_read_b64 v[38:39], v2
	ds_read_b64 v[40:41], v3
	;; [unrolled: 1-line block ×3, first 2 shown]
	v_addc_co_u32_e32 v6, vcc, v6, v45, vcc
	v_or_b32_e32 v15, 0x1000, v74
	v_add_co_u32_e32 v44, vcc, v11, v15
	v_xor_b32_e32 v31, 0x80000000, v31
	v_addc_co_u32_e32 v45, vcc, 0, v6, vcc
	global_store_dword v[44:45], v31, off
	v_xor_b32_e32 v6, 0x80000000, v32
	s_waitcnt lgkmcnt(2)
	v_lshlrev_b64 v[31:32], 2, v[38:39]
	v_mov_b32_e32 v11, s83
	v_add_co_u32_e32 v15, vcc, s82, v31
	v_addc_co_u32_e32 v11, vcc, v11, v32, vcc
	v_or_b32_e32 v21, 0x1400, v74
	v_add_co_u32_e32 v31, vcc, v15, v21
	v_addc_co_u32_e32 v32, vcc, 0, v11, vcc
	global_store_dword v[31:32], v6, off
	s_waitcnt lgkmcnt(1)
	v_lshlrev_b64 v[31:32], 2, v[40:41]
	v_mov_b32_e32 v11, s83
	v_add_co_u32_e32 v15, vcc, s82, v31
	v_addc_co_u32_e32 v11, vcc, v11, v32, vcc
	v_or_b32_e32 v21, 0x1800, v74
	v_add_co_u32_e32 v31, vcc, v15, v21
	v_xor_b32_e32 v6, 0x80000000, v36
	v_addc_co_u32_e32 v32, vcc, 0, v11, vcc
	global_store_dword v[31:32], v6, off
	s_waitcnt lgkmcnt(0)
	v_lshlrev_b64 v[31:32], 2, v[42:43]
	v_mov_b32_e32 v11, s83
	v_add_co_u32_e32 v15, vcc, s82, v31
	v_addc_co_u32_e32 v11, vcc, v11, v32, vcc
	ds_read2st64_b32 v[32:33], v51 offset0:40 offset1:44
	v_or_b32_e32 v21, 0x1c00, v74
	v_add_co_u32_e32 v36, vcc, v15, v21
	v_xor_b32_e32 v6, 0x80000000, v37
	v_addc_co_u32_e32 v37, vcc, 0, v11, vcc
	s_waitcnt lgkmcnt(0)
	v_lshrrev_b32_e32 v11, s92, v32
	global_store_dword v[36:37], v6, off
	v_and_b32_e32 v11, s9, v11
	v_lshlrev_b32_e32 v11, 3, v11
	ds_read2st64_b32 v[36:37], v51 offset0:48 offset1:52
	ds_read_b64 v[38:39], v11
	v_lshrrev_b32_e32 v15, s92, v33
	v_and_b32_e32 v15, s9, v15
	v_or_b32_e32 v6, 0x800, v0
	s_waitcnt lgkmcnt(1)
	v_lshrrev_b32_e32 v31, s92, v37
	s_waitcnt lgkmcnt(0)
	v_lshlrev_b64 v[38:39], 2, v[38:39]
	v_lshrrev_b32_e32 v21, s92, v36
	v_and_b32_e32 v31, s9, v31
	v_xor_b32_e32 v26, 0x80000000, v32
	v_lshlrev_b32_e32 v15, 3, v15
	v_and_b32_e32 v21, s9, v21
	v_lshlrev_b32_e32 v32, 3, v31
	v_mov_b32_e32 v31, s83
	v_add_co_u32_e32 v38, vcc, s82, v38
	v_lshlrev_b32_e32 v21, 3, v21
	ds_read_b64 v[40:41], v15
	ds_read_b64 v[42:43], v21
	;; [unrolled: 1-line block ×3, first 2 shown]
	v_addc_co_u32_e32 v31, vcc, v31, v39, vcc
	v_lshlrev_b32_e32 v39, 2, v6
	v_add_co_u32_e32 v38, vcc, v38, v39
	v_addc_co_u32_e32 v39, vcc, 0, v31, vcc
	global_store_dword v[38:39], v26, off
	s_waitcnt lgkmcnt(2)
	v_lshlrev_b64 v[38:39], 2, v[40:41]
	v_or_b32_e32 v31, 0x900, v0
	v_xor_b32_e32 v26, 0x80000000, v33
	v_mov_b32_e32 v33, s83
	v_add_co_u32_e32 v38, vcc, s82, v38
	v_addc_co_u32_e32 v33, vcc, v33, v39, vcc
	v_lshlrev_b32_e32 v39, 2, v31
	v_add_co_u32_e32 v38, vcc, v38, v39
	v_addc_co_u32_e32 v39, vcc, 0, v33, vcc
	global_store_dword v[38:39], v26, off
	s_waitcnt lgkmcnt(1)
	v_lshlrev_b64 v[38:39], 2, v[42:43]
	v_or_b32_e32 v33, 0xa00, v0
	v_xor_b32_e32 v26, 0x80000000, v36
	v_mov_b32_e32 v36, s83
	v_add_co_u32_e32 v38, vcc, s82, v38
	v_addc_co_u32_e32 v36, vcc, v36, v39, vcc
	v_lshlrev_b32_e32 v39, 2, v33
	v_add_co_u32_e32 v38, vcc, v38, v39
	v_addc_co_u32_e32 v39, vcc, 0, v36, vcc
	global_store_dword v[38:39], v26, off
	v_xor_b32_e32 v38, 0x80000000, v37
	s_waitcnt lgkmcnt(0)
	v_lshlrev_b64 v[36:37], 2, v[44:45]
	v_mov_b32_e32 v39, s83
	v_add_co_u32_e32 v36, vcc, s82, v36
	v_addc_co_u32_e32 v37, vcc, v39, v37, vcc
	ds_read2st64_b32 v[39:40], v51 offset0:56 offset1:60
	v_or_b32_e32 v26, 0xb00, v0
	v_lshlrev_b32_e32 v41, 2, v26
	v_add_co_u32_e32 v36, vcc, v36, v41
	v_addc_co_u32_e32 v37, vcc, 0, v37, vcc
	global_store_dword v[36:37], v38, off
	s_waitcnt lgkmcnt(0)
	v_lshrrev_b32_e32 v37, s92, v39
	v_and_b32_e32 v37, s9, v37
	v_lshlrev_b32_e32 v37, 3, v37
	ds_read2st64_b32 v[41:42], v51 offset0:64 offset1:68
	ds_read_b64 v[43:44], v37
	v_lshrrev_b32_e32 v38, s92, v40
	v_xor_b32_e32 v56, 0x80000000, v39
	v_and_b32_e32 v38, s9, v38
	s_waitcnt lgkmcnt(1)
	v_lshrrev_b32_e32 v39, s92, v41
	s_waitcnt lgkmcnt(0)
	v_lshlrev_b64 v[43:44], 2, v[43:44]
	v_lshrrev_b32_e32 v45, s92, v42
	v_or_b32_e32 v36, 0xc00, v0
	v_lshlrev_b32_e32 v38, 3, v38
	v_and_b32_e32 v39, s9, v39
	v_and_b32_e32 v45, s9, v45
	v_add_co_u32_e32 v43, vcc, s82, v43
	v_lshlrev_b32_e32 v39, 3, v39
	v_lshlrev_b32_e32 v57, 3, v45
	ds_read_b64 v[45:46], v38
	ds_read_b64 v[47:48], v39
	;; [unrolled: 1-line block ×3, first 2 shown]
	v_addc_co_u32_e32 v44, vcc, v58, v44, vcc
	v_lshlrev_b32_e32 v58, 2, v36
	v_add_co_u32_e32 v43, vcc, v43, v58
	v_addc_co_u32_e32 v44, vcc, 0, v44, vcc
	global_store_dword v[43:44], v56, off
	s_waitcnt lgkmcnt(2)
	v_lshlrev_b64 v[43:44], 2, v[45:46]
	v_or_b32_e32 v56, 0xd00, v0
	v_mov_b32_e32 v45, s83
	v_add_co_u32_e32 v43, vcc, s82, v43
	v_addc_co_u32_e32 v44, vcc, v45, v44, vcc
	v_lshlrev_b32_e32 v45, 2, v56
	v_add_co_u32_e32 v43, vcc, v43, v45
	v_addc_co_u32_e32 v44, vcc, 0, v44, vcc
	v_mov_b32_e32 v46, s1
	v_add_co_u32_e32 v8, vcc, s0, v8
	v_xor_b32_e32 v40, 0x80000000, v40
	v_addc_co_u32_e32 v46, vcc, 0, v46, vcc
	global_store_dword v[43:44], v40, off
	v_xor_b32_e32 v43, 0x80000000, v41
	s_waitcnt lgkmcnt(1)
	v_lshlrev_b64 v[40:41], 2, v[47:48]
	v_add_co_u32_e32 v7, vcc, v8, v7
	v_addc_co_u32_e32 v8, vcc, 0, v46, vcc
	v_mov_b32_e32 v45, s83
	global_load_ushort v46, v[7:8], off
	v_add_co_u32_e32 v40, vcc, s82, v40
	v_addc_co_u32_e32 v41, vcc, v45, v41, vcc
	global_load_ushort v45, v[7:8], off offset:128
	v_or_b32_e32 v44, 0xe00, v0
	v_lshlrev_b32_e32 v47, 2, v44
	global_load_ushort v48, v[7:8], off offset:256
	global_load_ushort v58, v[7:8], off offset:384
	;; [unrolled: 1-line block ×4, first 2 shown]
	v_add_co_u32_e32 v40, vcc, v40, v47
	global_load_ushort v47, v[7:8], off offset:768
	global_load_ushort v61, v[7:8], off offset:896
	;; [unrolled: 1-line block ×4, first 2 shown]
	v_addc_co_u32_e32 v41, vcc, 0, v41, vcc
	global_store_dword v[40:41], v43, off
	s_waitcnt lgkmcnt(0)
	v_lshlrev_b64 v[40:41], 2, v[49:50]
	global_load_ushort v49, v[7:8], off offset:1280
	global_load_ushort v50, v[7:8], off offset:1408
	;; [unrolled: 1-line block ×7, first 2 shown]
	v_mov_b32_e32 v43, s83
	v_add_co_u32_e32 v68, vcc, s82, v40
	v_addc_co_u32_e32 v43, vcc, v43, v41, vcc
	ds_read2st64_b32 v[40:41], v51 offset0:72 offset1:76
	global_load_ushort v51, v[7:8], off offset:2176
	v_add_co_u32_e32 v7, vcc, v68, v70
	v_xor_b32_e32 v42, 0x80000000, v42
	v_addc_co_u32_e32 v8, vcc, 0, v43, vcc
	global_store_dword v[7:8], v42, off
	s_waitcnt lgkmcnt(0)
	v_lshrrev_b32_e32 v7, s92, v40
	v_and_b32_e32 v7, s9, v7
	v_lshlrev_b32_e32 v70, 3, v7
	ds_read_b64 v[7:8], v70
	v_lshrrev_b32_e32 v42, s92, v41
	v_and_b32_e32 v42, s9, v42
	v_lshlrev_b32_e32 v72, 3, v42
	ds_read_b64 v[42:43], v72
	s_waitcnt lgkmcnt(1)
	v_lshlrev_b64 v[7:8], 2, v[7:8]
	v_or_b32_e32 v68, 0x1000, v0
	v_add_co_u32_e32 v7, vcc, s82, v7
	v_addc_co_u32_e32 v8, vcc, v73, v8, vcc
	v_lshlrev_b32_e32 v73, 2, v68
	v_add_co_u32_e32 v7, vcc, v7, v73
	v_xor_b32_e32 v40, 0x80000000, v40
	v_addc_co_u32_e32 v8, vcc, 0, v8, vcc
	global_store_dword v[7:8], v40, off
	s_waitcnt lgkmcnt(0)
	v_lshlrev_b64 v[7:8], 2, v[42:43]
	v_or_b32_e32 v40, 0x1100, v0
	v_mov_b32_e32 v42, s83
	v_add_co_u32_e32 v7, vcc, s82, v7
	v_addc_co_u32_e32 v8, vcc, v42, v8, vcc
	v_lshlrev_b32_e32 v42, 2, v40
	v_add_co_u32_e32 v7, vcc, v7, v42
	v_xor_b32_e32 v41, 0x80000000, v41
	v_addc_co_u32_e32 v8, vcc, 0, v8, vcc
	global_store_dword v[7:8], v41, off
	v_lshlrev_b32_e32 v7, 1, v35
	s_waitcnt vmcnt(0)
	s_barrier
	v_lshlrev_b32_e32 v0, 1, v0
	v_lshlrev_b32_e32 v6, 1, v6
	ds_write_b16 v7, v46 offset:2048
	v_lshlrev_b32_e32 v7, 1, v34
	ds_write_b16 v7, v45 offset:2048
	;; [unrolled: 2-line block ×18, first 2 shown]
	s_waitcnt lgkmcnt(0)
	s_barrier
	ds_read_b64 v[7:8], v52
	ds_read_u16 v14, v0 offset:2048
	ds_read_b64 v[12:13], v53
	ds_read_b64 v[16:17], v54
	;; [unrolled: 1-line block ×3, first 2 shown]
	s_waitcnt lgkmcnt(4)
	v_lshlrev_b64 v[7:8], 1, v[7:8]
	v_mov_b32_e32 v20, s87
	v_add_co_u32_e32 v7, vcc, s86, v7
	v_addc_co_u32_e32 v8, vcc, v20, v8, vcc
	v_add_co_u32_e32 v7, vcc, v7, v0
	v_addc_co_u32_e32 v8, vcc, 0, v8, vcc
	ds_read_u16 v20, v0 offset:2560
	ds_read_b64 v[22:23], v70
	ds_read_b64 v[24:25], v72
	s_waitcnt lgkmcnt(6)
	global_store_short v[7:8], v14, off
	s_waitcnt lgkmcnt(5)
	v_lshlrev_b64 v[7:8], 1, v[12:13]
	v_mov_b32_e32 v12, s87
	v_add_co_u32_e32 v7, vcc, s86, v7
	v_addc_co_u32_e32 v8, vcc, v12, v8, vcc
	v_add_co_u32_e32 v7, vcc, v7, v0
	v_addc_co_u32_e32 v8, vcc, 0, v8, vcc
	s_waitcnt lgkmcnt(2)
	global_store_short v[7:8], v20, off offset:512
	v_lshlrev_b64 v[7:8], 1, v[16:17]
	v_add_co_u32_e32 v7, vcc, s86, v7
	v_addc_co_u32_e32 v8, vcc, v12, v8, vcc
	v_add_co_u32_e32 v7, vcc, v7, v0
	v_addc_co_u32_e32 v8, vcc, 0, v8, vcc
	ds_read_u16 v12, v0 offset:3072
	ds_read_u16 v14, v0 offset:3584
	;; [unrolled: 1-line block ×8, first 2 shown]
	s_waitcnt lgkmcnt(7)
	global_store_short v[7:8], v12, off offset:1024
	v_lshlrev_b64 v[7:8], 1, v[18:19]
	v_mov_b32_e32 v12, s87
	v_add_co_u32_e32 v7, vcc, s86, v7
	v_addc_co_u32_e32 v8, vcc, v12, v8, vcc
	ds_read_b64 v[12:13], v4
	v_add_co_u32_e32 v7, vcc, v7, v0
	v_addc_co_u32_e32 v8, vcc, 0, v8, vcc
	s_waitcnt lgkmcnt(7)
	global_store_short v[7:8], v14, off offset:1536
	s_waitcnt lgkmcnt(0)
	v_lshlrev_b64 v[12:13], 1, v[12:13]
	ds_read_b64 v[7:8], v2
	ds_read_b64 v[2:3], v3
	ds_read_b64 v[4:5], v5
	v_mov_b32_e32 v14, s87
	v_add_co_u32_e32 v12, vcc, s86, v12
	v_addc_co_u32_e32 v13, vcc, v14, v13, vcc
	v_add_co_u32_e32 v12, vcc, v12, v0
	s_waitcnt lgkmcnt(2)
	v_lshlrev_b64 v[7:8], 1, v[7:8]
	v_addc_co_u32_e32 v13, vcc, 0, v13, vcc
	global_store_short v[12:13], v16, off offset:2048
	v_mov_b32_e32 v12, s87
	v_add_co_u32_e32 v7, vcc, s86, v7
	v_addc_co_u32_e32 v8, vcc, v12, v8, vcc
	v_add_co_u32_e32 v7, vcc, v7, v0
	s_waitcnt lgkmcnt(1)
	v_lshlrev_b64 v[2:3], 1, v[2:3]
	v_addc_co_u32_e32 v8, vcc, 0, v8, vcc
	global_store_short v[7:8], v17, off offset:2560
	v_mov_b32_e32 v7, s87
	v_add_co_u32_e32 v2, vcc, s86, v2
	v_addc_co_u32_e32 v3, vcc, v7, v3, vcc
	v_add_co_u32_e32 v2, vcc, v2, v0
	v_addc_co_u32_e32 v3, vcc, 0, v3, vcc
	global_store_short v[2:3], v20, off offset:3072
	s_waitcnt lgkmcnt(0)
	v_lshlrev_b64 v[2:3], 1, v[4:5]
	v_mov_b32_e32 v4, s87
	v_add_co_u32_e32 v2, vcc, s86, v2
	v_addc_co_u32_e32 v3, vcc, v4, v3, vcc
	ds_read_b64 v[4:5], v11
	v_add_co_u32_e32 v2, vcc, v2, v0
	v_addc_co_u32_e32 v3, vcc, 0, v3, vcc
	global_store_short v[2:3], v27, off offset:3584
	s_waitcnt lgkmcnt(0)
	v_lshlrev_b64 v[4:5], 1, v[4:5]
	ds_read_b64 v[2:3], v15
	ds_read_b64 v[7:8], v21
	;; [unrolled: 1-line block ×3, first 2 shown]
	v_mov_b32_e32 v13, s87
	v_add_co_u32_e32 v4, vcc, s86, v4
	v_addc_co_u32_e32 v5, vcc, v13, v5, vcc
	v_add_co_u32_e32 v4, vcc, v4, v6
	s_waitcnt lgkmcnt(2)
	v_lshlrev_b64 v[2:3], 1, v[2:3]
	v_addc_co_u32_e32 v5, vcc, 0, v5, vcc
	global_store_short v[4:5], v28, off
	v_mov_b32_e32 v4, s87
	v_add_co_u32_e32 v2, vcc, s86, v2
	v_addc_co_u32_e32 v3, vcc, v4, v3, vcc
	v_lshlrev_b32_e32 v4, 1, v31
	v_add_co_u32_e32 v2, vcc, v2, v4
	v_addc_co_u32_e32 v3, vcc, 0, v3, vcc
	global_store_short v[2:3], v29, off
	s_waitcnt lgkmcnt(1)
	v_lshlrev_b64 v[2:3], 1, v[7:8]
	v_mov_b32_e32 v4, s87
	v_add_co_u32_e32 v2, vcc, s86, v2
	v_addc_co_u32_e32 v3, vcc, v4, v3, vcc
	v_lshlrev_b32_e32 v4, 1, v33
	v_add_co_u32_e32 v2, vcc, v2, v4
	v_addc_co_u32_e32 v3, vcc, 0, v3, vcc
	ds_read_u16 v4, v0 offset:7168
	ds_read_u16 v6, v0 offset:7680
	;; [unrolled: 1-line block ×8, first 2 shown]
	s_waitcnt lgkmcnt(7)
	global_store_short v[2:3], v4, off
	v_lshlrev_b64 v[2:3], 1, v[11:12]
	v_mov_b32_e32 v4, s87
	v_add_co_u32_e32 v2, vcc, s86, v2
	v_addc_co_u32_e32 v3, vcc, v4, v3, vcc
	v_lshlrev_b32_e32 v4, 1, v26
	v_add_co_u32_e32 v2, vcc, v2, v4
	ds_read_b64 v[4:5], v37
	v_addc_co_u32_e32 v3, vcc, 0, v3, vcc
	s_waitcnt lgkmcnt(7)
	global_store_short v[2:3], v6, off
	ds_read_b64 v[2:3], v38
	ds_read_b64 v[6:7], v39
	ds_read_b64 v[11:12], v57
	s_waitcnt lgkmcnt(3)
	v_lshlrev_b64 v[4:5], 1, v[4:5]
	v_mov_b32_e32 v17, s87
	v_add_co_u32_e32 v4, vcc, s86, v4
	v_addc_co_u32_e32 v5, vcc, v17, v5, vcc
	v_lshlrev_b32_e32 v17, 1, v36
	v_add_co_u32_e32 v4, vcc, v4, v17
	s_waitcnt lgkmcnt(2)
	v_lshlrev_b64 v[2:3], 1, v[2:3]
	v_addc_co_u32_e32 v5, vcc, 0, v5, vcc
	global_store_short v[4:5], v8, off
	v_mov_b32_e32 v4, s87
	v_add_co_u32_e32 v2, vcc, s86, v2
	v_addc_co_u32_e32 v3, vcc, v4, v3, vcc
	v_lshlrev_b32_e32 v4, 1, v56
	v_add_co_u32_e32 v2, vcc, v2, v4
	v_addc_co_u32_e32 v3, vcc, 0, v3, vcc
	global_store_short v[2:3], v13, off
	s_waitcnt lgkmcnt(1)
	v_lshlrev_b64 v[2:3], 1, v[6:7]
	v_mov_b32_e32 v4, s87
	v_add_co_u32_e32 v2, vcc, s86, v2
	v_addc_co_u32_e32 v3, vcc, v4, v3, vcc
	v_lshlrev_b32_e32 v4, 1, v44
	v_add_co_u32_e32 v2, vcc, v2, v4
	v_addc_co_u32_e32 v3, vcc, 0, v3, vcc
	global_store_short v[2:3], v14, off
	s_waitcnt lgkmcnt(0)
	v_lshlrev_b64 v[2:3], 1, v[11:12]
	v_mov_b32_e32 v4, s87
	v_add_co_u32_e32 v2, vcc, s86, v2
	v_addc_co_u32_e32 v3, vcc, v4, v3, vcc
	v_lshlrev_b32_e32 v4, 1, v62
	v_add_co_u32_e32 v2, vcc, v2, v4
	v_addc_co_u32_e32 v3, vcc, 0, v3, vcc
	global_store_short v[2:3], v15, off
	v_lshlrev_b64 v[2:3], 1, v[22:23]
	v_mov_b32_e32 v4, s87
	v_add_co_u32_e32 v2, vcc, s86, v2
	v_addc_co_u32_e32 v3, vcc, v4, v3, vcc
	v_lshlrev_b32_e32 v4, 1, v68
	v_add_co_u32_e32 v2, vcc, v2, v4
	v_addc_co_u32_e32 v3, vcc, 0, v3, vcc
	global_store_short v[2:3], v16, off
	;; [unrolled: 8-line block ×3, first 2 shown]
	s_cbranch_scc1 .LBB24_273
; %bb.272:
	ds_read_b64 v[2:3], v1
	v_add_co_u32_e32 v0, vcc, v10, v9
	v_addc_co_u32_e64 v4, s[0:1], 0, 0, vcc
	s_waitcnt lgkmcnt(0)
	v_add_co_u32_e32 v2, vcc, v0, v2
	v_addc_co_u32_e32 v3, vcc, v4, v3, vcc
	global_store_dwordx2 v1, v[2:3], s[2:3]
.LBB24_273:
	s_endpgm
.LBB24_274:
	s_or_b64 exec, exec, s[0:1]
	s_and_saveexec_b64 s[0:1], s[40:41]
	s_cbranch_execz .LBB24_199
.LBB24_275:
	v_lshlrev_b32_e32 v10, 3, v65
	ds_read_b64 v[10:11], v10
	v_lshlrev_b32_e32 v22, 1, v0
	ds_read_u16 v24, v22 offset:2560
	v_mov_b32_e32 v26, s87
	s_waitcnt lgkmcnt(1)
	v_lshlrev_b64 v[10:11], 1, v[10:11]
	v_add_co_u32_e32 v10, vcc, s86, v10
	v_addc_co_u32_e32 v11, vcc, v26, v11, vcc
	v_add_co_u32_e32 v10, vcc, v10, v22
	v_addc_co_u32_e32 v11, vcc, 0, v11, vcc
	s_waitcnt lgkmcnt(0)
	global_store_short v[10:11], v24, off offset:512
	s_or_b64 exec, exec, s[0:1]
	s_and_saveexec_b64 s[0:1], s[42:43]
	s_cbranch_execnz .LBB24_200
.LBB24_276:
	s_or_b64 exec, exec, s[0:1]
	s_and_saveexec_b64 s[0:1], s[44:45]
	s_cbranch_execz .LBB24_201
.LBB24_277:
	v_lshlrev_b32_e32 v10, 3, v61
	ds_read_b64 v[10:11], v10
	v_lshlrev_b32_e32 v22, 1, v0
	ds_read_u16 v24, v22 offset:3584
	v_mov_b32_e32 v26, s87
	s_waitcnt lgkmcnt(1)
	v_lshlrev_b64 v[10:11], 1, v[10:11]
	v_add_co_u32_e32 v10, vcc, s86, v10
	v_addc_co_u32_e32 v11, vcc, v26, v11, vcc
	v_add_co_u32_e32 v10, vcc, v10, v22
	v_addc_co_u32_e32 v11, vcc, 0, v11, vcc
	s_waitcnt lgkmcnt(0)
	global_store_short v[10:11], v24, off offset:1536
	s_or_b64 exec, exec, s[0:1]
	s_and_saveexec_b64 s[0:1], s[46:47]
	s_cbranch_execnz .LBB24_202
.LBB24_278:
	s_or_b64 exec, exec, s[0:1]
	s_and_saveexec_b64 s[0:1], s[48:49]
	s_cbranch_execz .LBB24_203
.LBB24_279:
	v_lshlrev_b32_e32 v10, 3, v58
	ds_read_b64 v[10:11], v10
	v_lshlrev_b32_e32 v22, 1, v0
	ds_read_u16 v24, v22 offset:4608
	v_mov_b32_e32 v26, s87
	s_waitcnt lgkmcnt(1)
	v_lshlrev_b64 v[10:11], 1, v[10:11]
	v_add_co_u32_e32 v10, vcc, s86, v10
	v_addc_co_u32_e32 v11, vcc, v26, v11, vcc
	v_add_co_u32_e32 v10, vcc, v10, v22
	v_addc_co_u32_e32 v11, vcc, 0, v11, vcc
	s_waitcnt lgkmcnt(0)
	global_store_short v[10:11], v24, off offset:2560
	s_or_b64 exec, exec, s[0:1]
	s_and_saveexec_b64 s[0:1], s[50:51]
	s_cbranch_execnz .LBB24_204
.LBB24_280:
	s_or_b64 exec, exec, s[0:1]
	s_and_saveexec_b64 s[0:1], s[52:53]
	s_cbranch_execz .LBB24_205
.LBB24_281:
	v_lshlrev_b32_e32 v10, 3, v53
	ds_read_b64 v[10:11], v10
	v_lshlrev_b32_e32 v22, 1, v0
	ds_read_u16 v24, v22 offset:5632
	v_mov_b32_e32 v26, s87
	s_waitcnt lgkmcnt(1)
	v_lshlrev_b64 v[10:11], 1, v[10:11]
	v_add_co_u32_e32 v10, vcc, s86, v10
	v_addc_co_u32_e32 v11, vcc, v26, v11, vcc
	v_add_co_u32_e32 v10, vcc, v10, v22
	v_addc_co_u32_e32 v11, vcc, 0, v11, vcc
	s_waitcnt lgkmcnt(0)
	global_store_short v[10:11], v24, off offset:3584
	s_or_b64 exec, exec, s[0:1]
	s_and_saveexec_b64 s[0:1], s[54:55]
	s_cbranch_execnz .LBB24_206
.LBB24_282:
	s_or_b64 exec, exec, s[0:1]
	s_and_saveexec_b64 s[0:1], s[56:57]
	s_cbranch_execz .LBB24_207
.LBB24_283:
	v_lshlrev_b32_e32 v5, 3, v47
	ds_read_b64 v[10:11], v5
	v_lshlrev_b32_e32 v5, 1, v0
	ds_read_u16 v22, v5 offset:6656
	v_mov_b32_e32 v5, s87
	s_waitcnt lgkmcnt(1)
	v_lshlrev_b64 v[10:11], 1, v[10:11]
	v_add_co_u32_e32 v10, vcc, s86, v10
	v_addc_co_u32_e32 v11, vcc, v5, v11, vcc
	v_lshlrev_b32_e32 v5, 1, v6
	v_add_co_u32_e32 v5, vcc, v10, v5
	v_addc_co_u32_e32 v6, vcc, 0, v11, vcc
	s_waitcnt lgkmcnt(0)
	global_store_short v[5:6], v22, off
	s_or_b64 exec, exec, s[0:1]
	s_and_saveexec_b64 s[0:1], s[58:59]
	s_cbranch_execnz .LBB24_208
.LBB24_284:
	s_or_b64 exec, exec, s[0:1]
	s_and_saveexec_b64 s[0:1], s[60:61]
	s_cbranch_execz .LBB24_209
.LBB24_285:
	v_lshlrev_b32_e32 v5, 3, v28
	ds_read_b64 v[5:6], v5
	v_lshlrev_b32_e32 v8, 1, v0
	ds_read_u16 v8, v8 offset:7680
	v_mov_b32_e32 v10, s87
	s_waitcnt lgkmcnt(1)
	v_lshlrev_b64 v[5:6], 1, v[5:6]
	v_add_co_u32_e32 v5, vcc, s86, v5
	v_addc_co_u32_e32 v6, vcc, v10, v6, vcc
	v_lshlrev_b32_e32 v10, 1, v13
	v_add_co_u32_e32 v5, vcc, v5, v10
	v_addc_co_u32_e32 v6, vcc, 0, v6, vcc
	s_waitcnt lgkmcnt(0)
	global_store_short v[5:6], v8, off
	s_or_b64 exec, exec, s[0:1]
	s_and_saveexec_b64 s[0:1], s[62:63]
	s_cbranch_execnz .LBB24_210
.LBB24_286:
	s_or_b64 exec, exec, s[0:1]
	s_and_saveexec_b64 s[0:1], s[64:65]
	s_cbranch_execz .LBB24_211
.LBB24_287:
	v_lshlrev_b32_e32 v5, 3, v23
	ds_read_b64 v[5:6], v5
	v_lshlrev_b32_e32 v8, 1, v0
	ds_read_u16 v8, v8 offset:8704
	v_mov_b32_e32 v10, s87
	s_waitcnt lgkmcnt(1)
	v_lshlrev_b64 v[5:6], 1, v[5:6]
	v_add_co_u32_e32 v5, vcc, s86, v5
	v_addc_co_u32_e32 v6, vcc, v10, v6, vcc
	v_lshlrev_b32_e32 v10, 1, v15
	v_add_co_u32_e32 v5, vcc, v5, v10
	v_addc_co_u32_e32 v6, vcc, 0, v6, vcc
	s_waitcnt lgkmcnt(0)
	global_store_short v[5:6], v8, off
	s_or_b64 exec, exec, s[0:1]
	s_and_saveexec_b64 s[0:1], s[66:67]
	s_cbranch_execnz .LBB24_212
.LBB24_288:
	s_or_b64 exec, exec, s[0:1]
	s_and_saveexec_b64 s[0:1], s[68:69]
	s_cbranch_execz .LBB24_213
.LBB24_289:
	v_lshlrev_b32_e32 v4, 3, v4
	ds_read_b64 v[4:5], v4
	v_lshlrev_b32_e32 v6, 1, v0
	ds_read_u16 v6, v6 offset:9728
	v_mov_b32_e32 v8, s87
	s_waitcnt lgkmcnt(1)
	v_lshlrev_b64 v[4:5], 1, v[4:5]
	v_add_co_u32_e32 v4, vcc, s86, v4
	v_addc_co_u32_e32 v5, vcc, v8, v5, vcc
	v_lshlrev_b32_e32 v8, 1, v17
	v_add_co_u32_e32 v4, vcc, v4, v8
	v_addc_co_u32_e32 v5, vcc, 0, v5, vcc
	s_waitcnt lgkmcnt(0)
	global_store_short v[4:5], v6, off
	s_or_b64 exec, exec, s[0:1]
	s_and_saveexec_b64 s[0:1], s[70:71]
	s_cbranch_execnz .LBB24_214
.LBB24_290:
	s_or_b64 exec, exec, s[0:1]
	s_and_saveexec_b64 s[0:1], s[72:73]
	s_cbranch_execz .LBB24_215
.LBB24_291:
	v_lshlrev_b32_e32 v3, 3, v3
	ds_read_b64 v[3:4], v3
	v_lshlrev_b32_e32 v5, 1, v0
	ds_read_u16 v5, v5 offset:10752
	v_mov_b32_e32 v6, s87
	s_waitcnt lgkmcnt(1)
	v_lshlrev_b64 v[3:4], 1, v[3:4]
	v_add_co_u32_e32 v3, vcc, s86, v3
	v_addc_co_u32_e32 v4, vcc, v6, v4, vcc
	v_lshlrev_b32_e32 v6, 1, v19
	v_add_co_u32_e32 v3, vcc, v3, v6
	v_addc_co_u32_e32 v4, vcc, 0, v4, vcc
	s_waitcnt lgkmcnt(0)
	global_store_short v[3:4], v5, off
	s_or_b64 exec, exec, s[0:1]
	s_add_i32 s33, s33, -1
	s_cmp_eq_u32 s6, s33
	s_cbranch_scc1 .LBB24_216
	s_branch .LBB24_217
	.section	.rodata,"a",@progbits
	.p2align	6, 0x0
	.amdhsa_kernel _ZN7rocprim17ROCPRIM_304000_NS6detail25onesweep_iteration_kernelINS1_34wrapped_radix_sort_onesweep_configINS0_14default_configEiN2at4cuda3cub6detail10OpaqueTypeILi2EEEEELb0EPKiPiPKSA_PSA_mNS0_19identity_decomposerEEEvT1_T2_T3_T4_jPT5_SO_PNS1_23onesweep_lookback_stateET6_jjj
		.amdhsa_group_segment_fixed_size 20480
		.amdhsa_private_segment_fixed_size 0
		.amdhsa_kernarg_size 336
		.amdhsa_user_sgpr_count 6
		.amdhsa_user_sgpr_private_segment_buffer 1
		.amdhsa_user_sgpr_dispatch_ptr 0
		.amdhsa_user_sgpr_queue_ptr 0
		.amdhsa_user_sgpr_kernarg_segment_ptr 1
		.amdhsa_user_sgpr_dispatch_id 0
		.amdhsa_user_sgpr_flat_scratch_init 0
		.amdhsa_user_sgpr_private_segment_size 0
		.amdhsa_uses_dynamic_stack 0
		.amdhsa_system_sgpr_private_segment_wavefront_offset 0
		.amdhsa_system_sgpr_workgroup_id_x 1
		.amdhsa_system_sgpr_workgroup_id_y 0
		.amdhsa_system_sgpr_workgroup_id_z 0
		.amdhsa_system_sgpr_workgroup_info 0
		.amdhsa_system_vgpr_workitem_id 2
		.amdhsa_next_free_vgpr 89
		.amdhsa_next_free_sgpr 98
		.amdhsa_reserve_vcc 1
		.amdhsa_reserve_flat_scratch 0
		.amdhsa_float_round_mode_32 0
		.amdhsa_float_round_mode_16_64 0
		.amdhsa_float_denorm_mode_32 3
		.amdhsa_float_denorm_mode_16_64 3
		.amdhsa_dx10_clamp 1
		.amdhsa_ieee_mode 1
		.amdhsa_fp16_overflow 0
		.amdhsa_exception_fp_ieee_invalid_op 0
		.amdhsa_exception_fp_denorm_src 0
		.amdhsa_exception_fp_ieee_div_zero 0
		.amdhsa_exception_fp_ieee_overflow 0
		.amdhsa_exception_fp_ieee_underflow 0
		.amdhsa_exception_fp_ieee_inexact 0
		.amdhsa_exception_int_div_zero 0
	.end_amdhsa_kernel
	.section	.text._ZN7rocprim17ROCPRIM_304000_NS6detail25onesweep_iteration_kernelINS1_34wrapped_radix_sort_onesweep_configINS0_14default_configEiN2at4cuda3cub6detail10OpaqueTypeILi2EEEEELb0EPKiPiPKSA_PSA_mNS0_19identity_decomposerEEEvT1_T2_T3_T4_jPT5_SO_PNS1_23onesweep_lookback_stateET6_jjj,"axG",@progbits,_ZN7rocprim17ROCPRIM_304000_NS6detail25onesweep_iteration_kernelINS1_34wrapped_radix_sort_onesweep_configINS0_14default_configEiN2at4cuda3cub6detail10OpaqueTypeILi2EEEEELb0EPKiPiPKSA_PSA_mNS0_19identity_decomposerEEEvT1_T2_T3_T4_jPT5_SO_PNS1_23onesweep_lookback_stateET6_jjj,comdat
.Lfunc_end24:
	.size	_ZN7rocprim17ROCPRIM_304000_NS6detail25onesweep_iteration_kernelINS1_34wrapped_radix_sort_onesweep_configINS0_14default_configEiN2at4cuda3cub6detail10OpaqueTypeILi2EEEEELb0EPKiPiPKSA_PSA_mNS0_19identity_decomposerEEEvT1_T2_T3_T4_jPT5_SO_PNS1_23onesweep_lookback_stateET6_jjj, .Lfunc_end24-_ZN7rocprim17ROCPRIM_304000_NS6detail25onesweep_iteration_kernelINS1_34wrapped_radix_sort_onesweep_configINS0_14default_configEiN2at4cuda3cub6detail10OpaqueTypeILi2EEEEELb0EPKiPiPKSA_PSA_mNS0_19identity_decomposerEEEvT1_T2_T3_T4_jPT5_SO_PNS1_23onesweep_lookback_stateET6_jjj
                                        ; -- End function
	.set _ZN7rocprim17ROCPRIM_304000_NS6detail25onesweep_iteration_kernelINS1_34wrapped_radix_sort_onesweep_configINS0_14default_configEiN2at4cuda3cub6detail10OpaqueTypeILi2EEEEELb0EPKiPiPKSA_PSA_mNS0_19identity_decomposerEEEvT1_T2_T3_T4_jPT5_SO_PNS1_23onesweep_lookback_stateET6_jjj.num_vgpr, 89
	.set _ZN7rocprim17ROCPRIM_304000_NS6detail25onesweep_iteration_kernelINS1_34wrapped_radix_sort_onesweep_configINS0_14default_configEiN2at4cuda3cub6detail10OpaqueTypeILi2EEEEELb0EPKiPiPKSA_PSA_mNS0_19identity_decomposerEEEvT1_T2_T3_T4_jPT5_SO_PNS1_23onesweep_lookback_stateET6_jjj.num_agpr, 0
	.set _ZN7rocprim17ROCPRIM_304000_NS6detail25onesweep_iteration_kernelINS1_34wrapped_radix_sort_onesweep_configINS0_14default_configEiN2at4cuda3cub6detail10OpaqueTypeILi2EEEEELb0EPKiPiPKSA_PSA_mNS0_19identity_decomposerEEEvT1_T2_T3_T4_jPT5_SO_PNS1_23onesweep_lookback_stateET6_jjj.numbered_sgpr, 96
	.set _ZN7rocprim17ROCPRIM_304000_NS6detail25onesweep_iteration_kernelINS1_34wrapped_radix_sort_onesweep_configINS0_14default_configEiN2at4cuda3cub6detail10OpaqueTypeILi2EEEEELb0EPKiPiPKSA_PSA_mNS0_19identity_decomposerEEEvT1_T2_T3_T4_jPT5_SO_PNS1_23onesweep_lookback_stateET6_jjj.num_named_barrier, 0
	.set _ZN7rocprim17ROCPRIM_304000_NS6detail25onesweep_iteration_kernelINS1_34wrapped_radix_sort_onesweep_configINS0_14default_configEiN2at4cuda3cub6detail10OpaqueTypeILi2EEEEELb0EPKiPiPKSA_PSA_mNS0_19identity_decomposerEEEvT1_T2_T3_T4_jPT5_SO_PNS1_23onesweep_lookback_stateET6_jjj.private_seg_size, 0
	.set _ZN7rocprim17ROCPRIM_304000_NS6detail25onesweep_iteration_kernelINS1_34wrapped_radix_sort_onesweep_configINS0_14default_configEiN2at4cuda3cub6detail10OpaqueTypeILi2EEEEELb0EPKiPiPKSA_PSA_mNS0_19identity_decomposerEEEvT1_T2_T3_T4_jPT5_SO_PNS1_23onesweep_lookback_stateET6_jjj.uses_vcc, 1
	.set _ZN7rocprim17ROCPRIM_304000_NS6detail25onesweep_iteration_kernelINS1_34wrapped_radix_sort_onesweep_configINS0_14default_configEiN2at4cuda3cub6detail10OpaqueTypeILi2EEEEELb0EPKiPiPKSA_PSA_mNS0_19identity_decomposerEEEvT1_T2_T3_T4_jPT5_SO_PNS1_23onesweep_lookback_stateET6_jjj.uses_flat_scratch, 0
	.set _ZN7rocprim17ROCPRIM_304000_NS6detail25onesweep_iteration_kernelINS1_34wrapped_radix_sort_onesweep_configINS0_14default_configEiN2at4cuda3cub6detail10OpaqueTypeILi2EEEEELb0EPKiPiPKSA_PSA_mNS0_19identity_decomposerEEEvT1_T2_T3_T4_jPT5_SO_PNS1_23onesweep_lookback_stateET6_jjj.has_dyn_sized_stack, 0
	.set _ZN7rocprim17ROCPRIM_304000_NS6detail25onesweep_iteration_kernelINS1_34wrapped_radix_sort_onesweep_configINS0_14default_configEiN2at4cuda3cub6detail10OpaqueTypeILi2EEEEELb0EPKiPiPKSA_PSA_mNS0_19identity_decomposerEEEvT1_T2_T3_T4_jPT5_SO_PNS1_23onesweep_lookback_stateET6_jjj.has_recursion, 0
	.set _ZN7rocprim17ROCPRIM_304000_NS6detail25onesweep_iteration_kernelINS1_34wrapped_radix_sort_onesweep_configINS0_14default_configEiN2at4cuda3cub6detail10OpaqueTypeILi2EEEEELb0EPKiPiPKSA_PSA_mNS0_19identity_decomposerEEEvT1_T2_T3_T4_jPT5_SO_PNS1_23onesweep_lookback_stateET6_jjj.has_indirect_call, 0
	.section	.AMDGPU.csdata,"",@progbits
; Kernel info:
; codeLenInByte = 26556
; TotalNumSgprs: 100
; NumVgprs: 89
; ScratchSize: 0
; MemoryBound: 0
; FloatMode: 240
; IeeeMode: 1
; LDSByteSize: 20480 bytes/workgroup (compile time only)
; SGPRBlocks: 12
; VGPRBlocks: 22
; NumSGPRsForWavesPerEU: 102
; NumVGPRsForWavesPerEU: 89
; Occupancy: 2
; WaveLimiterHint : 1
; COMPUTE_PGM_RSRC2:SCRATCH_EN: 0
; COMPUTE_PGM_RSRC2:USER_SGPR: 6
; COMPUTE_PGM_RSRC2:TRAP_HANDLER: 0
; COMPUTE_PGM_RSRC2:TGID_X_EN: 1
; COMPUTE_PGM_RSRC2:TGID_Y_EN: 0
; COMPUTE_PGM_RSRC2:TGID_Z_EN: 0
; COMPUTE_PGM_RSRC2:TIDIG_COMP_CNT: 2
	.section	.text._ZN7rocprim17ROCPRIM_304000_NS6detail25onesweep_iteration_kernelINS1_34wrapped_radix_sort_onesweep_configINS0_14default_configEiN2at4cuda3cub6detail10OpaqueTypeILi2EEEEELb0EPiSC_PSA_SD_mNS0_19identity_decomposerEEEvT1_T2_T3_T4_jPT5_SK_PNS1_23onesweep_lookback_stateET6_jjj,"axG",@progbits,_ZN7rocprim17ROCPRIM_304000_NS6detail25onesweep_iteration_kernelINS1_34wrapped_radix_sort_onesweep_configINS0_14default_configEiN2at4cuda3cub6detail10OpaqueTypeILi2EEEEELb0EPiSC_PSA_SD_mNS0_19identity_decomposerEEEvT1_T2_T3_T4_jPT5_SK_PNS1_23onesweep_lookback_stateET6_jjj,comdat
	.protected	_ZN7rocprim17ROCPRIM_304000_NS6detail25onesweep_iteration_kernelINS1_34wrapped_radix_sort_onesweep_configINS0_14default_configEiN2at4cuda3cub6detail10OpaqueTypeILi2EEEEELb0EPiSC_PSA_SD_mNS0_19identity_decomposerEEEvT1_T2_T3_T4_jPT5_SK_PNS1_23onesweep_lookback_stateET6_jjj ; -- Begin function _ZN7rocprim17ROCPRIM_304000_NS6detail25onesweep_iteration_kernelINS1_34wrapped_radix_sort_onesweep_configINS0_14default_configEiN2at4cuda3cub6detail10OpaqueTypeILi2EEEEELb0EPiSC_PSA_SD_mNS0_19identity_decomposerEEEvT1_T2_T3_T4_jPT5_SK_PNS1_23onesweep_lookback_stateET6_jjj
	.globl	_ZN7rocprim17ROCPRIM_304000_NS6detail25onesweep_iteration_kernelINS1_34wrapped_radix_sort_onesweep_configINS0_14default_configEiN2at4cuda3cub6detail10OpaqueTypeILi2EEEEELb0EPiSC_PSA_SD_mNS0_19identity_decomposerEEEvT1_T2_T3_T4_jPT5_SK_PNS1_23onesweep_lookback_stateET6_jjj
	.p2align	8
	.type	_ZN7rocprim17ROCPRIM_304000_NS6detail25onesweep_iteration_kernelINS1_34wrapped_radix_sort_onesweep_configINS0_14default_configEiN2at4cuda3cub6detail10OpaqueTypeILi2EEEEELb0EPiSC_PSA_SD_mNS0_19identity_decomposerEEEvT1_T2_T3_T4_jPT5_SK_PNS1_23onesweep_lookback_stateET6_jjj,@function
_ZN7rocprim17ROCPRIM_304000_NS6detail25onesweep_iteration_kernelINS1_34wrapped_radix_sort_onesweep_configINS0_14default_configEiN2at4cuda3cub6detail10OpaqueTypeILi2EEEEELb0EPiSC_PSA_SD_mNS0_19identity_decomposerEEEvT1_T2_T3_T4_jPT5_SK_PNS1_23onesweep_lookback_stateET6_jjj: ; @_ZN7rocprim17ROCPRIM_304000_NS6detail25onesweep_iteration_kernelINS1_34wrapped_radix_sort_onesweep_configINS0_14default_configEiN2at4cuda3cub6detail10OpaqueTypeILi2EEEEELb0EPiSC_PSA_SD_mNS0_19identity_decomposerEEEvT1_T2_T3_T4_jPT5_SK_PNS1_23onesweep_lookback_stateET6_jjj
; %bb.0:
	s_load_dwordx8 s[80:87], s[4:5], 0x0
	s_load_dwordx4 s[92:95], s[4:5], 0x44
	s_load_dwordx4 s[0:3], s[4:5], 0x28
                                        ; implicit-def: $vgpr88 : SGPR spill to VGPR lane
	s_load_dwordx2 s[88:89], s[4:5], 0x38
	s_mov_b32 s7, s6
	s_mul_i32 s78, s6, 0x1200
	s_waitcnt lgkmcnt(0)
	s_cmp_ge_u32 s6, s94
	v_writelane_b32 v88, s0, 0
	v_writelane_b32 v88, s1, 1
	;; [unrolled: 1-line block ×4, first 2 shown]
	s_mov_b64 s[0:1], -1
	v_mbcnt_lo_u32_b32 v9, -1, 0
	s_cbranch_scc0 .LBB25_218
; %bb.1:
	s_load_dword s2, s[4:5], 0x20
	s_mul_i32 s90, s94, 0xffffee00
	s_mov_b32 s79, 0
	s_lshl_b64 s[0:1], s[78:79], 2
	v_mbcnt_hi_u32_b32 v11, -1, v9
	s_waitcnt lgkmcnt(0)
	s_add_i32 s90, s90, s2
	s_add_u32 s0, s80, s0
	s_addc_u32 s1, s81, s1
	v_and_b32_e32 v20, 0xc0, v0
	v_lshlrev_b32_e32 v3, 2, v11
	v_mul_u32_u24_e32 v10, 18, v20
	v_mov_b32_e32 v4, s1
	v_add_co_u32_e32 v3, vcc, s0, v3
	v_addc_co_u32_e32 v4, vcc, 0, v4, vcc
	v_lshlrev_b32_e32 v5, 2, v10
	v_add_co_u32_e32 v3, vcc, v3, v5
	v_or_b32_e32 v5, v11, v10
	v_mov_b32_e32 v7, -1
	v_addc_co_u32_e32 v4, vcc, 0, v4, vcc
	v_cmp_gt_u32_e64 s[0:1], s90, v5
	v_mov_b32_e32 v8, -1
	s_and_saveexec_b64 s[2:3], s[0:1]
	s_cbranch_execz .LBB25_3
; %bb.2:
	global_load_dword v6, v[3:4], off
	s_waitcnt vmcnt(0)
	v_xor_b32_e32 v8, 0x80000000, v6
.LBB25_3:
	s_or_b64 exec, exec, s[2:3]
	v_add_u32_e32 v6, 64, v5
	v_cmp_gt_u32_e64 s[2:3], s90, v6
	s_and_saveexec_b64 s[8:9], s[2:3]
	s_cbranch_execz .LBB25_5
; %bb.4:
	global_load_dword v6, v[3:4], off offset:256
	s_waitcnt vmcnt(0)
	v_xor_b32_e32 v7, 0x80000000, v6
.LBB25_5:
	s_or_b64 exec, exec, s[8:9]
	v_add_u32_e32 v6, 0x80, v5
	v_cmp_gt_u32_e64 s[74:75], s90, v6
	v_mov_b32_e32 v12, -1
	v_mov_b32_e32 v13, -1
	s_and_saveexec_b64 s[8:9], s[74:75]
	s_cbranch_execz .LBB25_7
; %bb.6:
	global_load_dword v6, v[3:4], off offset:512
	s_waitcnt vmcnt(0)
	v_xor_b32_e32 v13, 0x80000000, v6
.LBB25_7:
	s_or_b64 exec, exec, s[8:9]
	v_add_u32_e32 v6, 0xc0, v5
	v_cmp_gt_u32_e64 s[8:9], s90, v6
	s_and_saveexec_b64 s[10:11], s[8:9]
	s_cbranch_execz .LBB25_9
; %bb.8:
	global_load_dword v6, v[3:4], off offset:768
	s_waitcnt vmcnt(0)
	v_xor_b32_e32 v12, 0x80000000, v6
.LBB25_9:
	s_or_b64 exec, exec, s[10:11]
	v_add_u32_e32 v6, 0x100, v5
	v_cmp_gt_u32_e64 s[10:11], s90, v6
	v_mov_b32_e32 v14, -1
	v_mov_b32_e32 v15, -1
	s_and_saveexec_b64 s[12:13], s[10:11]
	s_cbranch_execz .LBB25_11
; %bb.10:
	global_load_dword v6, v[3:4], off offset:1024
	s_waitcnt vmcnt(0)
	v_xor_b32_e32 v15, 0x80000000, v6
.LBB25_11:
	;; [unrolled: 22-line block ×7, first 2 shown]
	s_or_b64 exec, exec, s[34:35]
	v_add_u32_e32 v6, 0x3c0, v5
	v_cmp_gt_u32_e64 s[34:35], s90, v6
	s_and_saveexec_b64 s[36:37], s[34:35]
	s_cbranch_execz .LBB25_33
; %bb.32:
	global_load_dword v6, v[3:4], off offset:3840
	s_waitcnt vmcnt(0)
	v_xor_b32_e32 v25, 0x80000000, v6
.LBB25_33:
	s_or_b64 exec, exec, s[36:37]
	v_add_u32_e32 v6, 0x400, v5
	v_cmp_gt_u32_e64 s[36:37], s90, v6
	v_mov_b32_e32 v27, -1
	v_mov_b32_e32 v28, -1
	s_and_saveexec_b64 s[38:39], s[36:37]
	s_cbranch_execz .LBB25_35
; %bb.34:
	v_add_co_u32_e32 v28, vcc, 0x1000, v3
	v_addc_co_u32_e32 v29, vcc, 0, v4, vcc
	global_load_dword v6, v[28:29], off
	s_waitcnt vmcnt(0)
	v_xor_b32_e32 v28, 0x80000000, v6
.LBB25_35:
	s_or_b64 exec, exec, s[38:39]
	v_add_u32_e32 v5, 0x440, v5
	v_cmp_gt_u32_e64 s[38:39], s90, v5
	s_and_saveexec_b64 s[40:41], s[38:39]
	s_cbranch_execz .LBB25_37
; %bb.36:
	v_add_co_u32_e32 v3, vcc, 0x1000, v3
	v_addc_co_u32_e32 v4, vcc, 0, v4, vcc
	global_load_dword v3, v[3:4], off offset:256
	s_waitcnt vmcnt(0)
	v_xor_b32_e32 v27, 0x80000000, v3
.LBB25_37:
	s_or_b64 exec, exec, s[40:41]
	s_load_dword s40, s[4:5], 0x5c
	s_load_dword s33, s[4:5], 0x50
	s_add_u32 s41, s4, 0x50
	s_addc_u32 s42, s5, 0
	v_mov_b32_e32 v3, 0
	s_waitcnt lgkmcnt(0)
	s_lshr_b32 s43, s40, 16
	s_cmp_lt_u32 s6, s33
	s_cselect_b32 s40, 12, 18
	s_add_u32 s40, s41, s40
	s_addc_u32 s41, s42, 0
	global_load_ushort v5, v3, s[40:41]
	s_lshl_b32 s40, -1, s93
	v_lshrrev_b32_e32 v4, s92, v8
	s_not_b32 s94, s40
	v_and_b32_e32 v30, s94, v4
	v_and_b32_e32 v31, 1, v30
	v_add_co_u32_e32 v33, vcc, -1, v31
	v_lshlrev_b32_e32 v4, 30, v30
	v_addc_co_u32_e64 v34, s[40:41], 0, -1, vcc
	v_cmp_ne_u32_e32 vcc, 0, v31
	v_cmp_gt_i64_e64 s[40:41], 0, v[3:4]
	v_not_b32_e32 v31, v4
	v_lshlrev_b32_e32 v4, 29, v30
	v_xor_b32_e32 v34, vcc_hi, v34
	v_xor_b32_e32 v33, vcc_lo, v33
	v_ashrrev_i32_e32 v31, 31, v31
	v_cmp_gt_i64_e32 vcc, 0, v[3:4]
	v_not_b32_e32 v35, v4
	v_lshlrev_b32_e32 v4, 28, v30
	v_and_b32_e32 v34, exec_hi, v34
	v_and_b32_e32 v33, exec_lo, v33
	v_xor_b32_e32 v36, s41, v31
	v_xor_b32_e32 v31, s40, v31
	v_ashrrev_i32_e32 v35, 31, v35
	v_cmp_gt_i64_e64 s[40:41], 0, v[3:4]
	v_not_b32_e32 v37, v4
	v_lshlrev_b32_e32 v4, 27, v30
	v_and_b32_e32 v34, v34, v36
	v_and_b32_e32 v31, v33, v31
	v_xor_b32_e32 v33, vcc_hi, v35
	v_xor_b32_e32 v35, vcc_lo, v35
	v_ashrrev_i32_e32 v36, 31, v37
	v_cmp_gt_i64_e32 vcc, 0, v[3:4]
	v_not_b32_e32 v37, v4
	v_lshlrev_b32_e32 v4, 26, v30
	v_and_b32_e32 v33, v34, v33
	v_and_b32_e32 v31, v31, v35
	v_xor_b32_e32 v34, s41, v36
	v_xor_b32_e32 v35, s40, v36
	v_ashrrev_i32_e32 v36, 31, v37
	v_cmp_gt_i64_e64 s[40:41], 0, v[3:4]
	v_not_b32_e32 v37, v4
	v_lshlrev_b32_e32 v4, 25, v30
	v_and_b32_e32 v33, v33, v34
	v_and_b32_e32 v31, v31, v35
	v_xor_b32_e32 v34, vcc_hi, v36
	v_xor_b32_e32 v35, vcc_lo, v36
	v_ashrrev_i32_e32 v36, 31, v37
	v_cmp_gt_i64_e32 vcc, 0, v[3:4]
	v_not_b32_e32 v37, v4
	v_mul_lo_u32 v32, v30, 20
	v_lshlrev_b32_e32 v4, 24, v30
	v_and_b32_e32 v30, v33, v34
	v_and_b32_e32 v31, v31, v35
	v_xor_b32_e32 v33, s41, v36
	v_xor_b32_e32 v34, s40, v36
	v_ashrrev_i32_e32 v35, 31, v37
	v_mad_u32_u24 v6, v2, s43, v1
	v_and_b32_e32 v30, v30, v33
	v_and_b32_e32 v31, v31, v34
	v_xor_b32_e32 v33, vcc_hi, v35
	v_xor_b32_e32 v34, vcc_lo, v35
	v_cmp_gt_i64_e64 s[40:41], 0, v[3:4]
	v_not_b32_e32 v4, v4
	v_and_b32_e32 v33, v30, v33
	v_and_b32_e32 v34, v31, v34
	v_ashrrev_i32_e32 v4, 31, v4
	v_xor_b32_e32 v35, s41, v4
	v_xor_b32_e32 v4, s40, v4
	v_and_b32_e32 v4, v34, v4
	v_mul_u32_u24_e32 v29, 20, v0
	ds_write2_b32 v29, v3, v3 offset0:4 offset1:5
	ds_write2_b32 v29, v3, v3 offset0:6 offset1:7
	ds_write_b32 v29, v3 offset:32
	s_waitcnt vmcnt(0) lgkmcnt(0)
	s_barrier
	; wave barrier
	v_mad_u64_u32 v[30:31], s[42:43], v6, v5, v[0:1]
	v_and_b32_e32 v5, v33, v35
	v_cmp_ne_u64_e32 vcc, 0, v[4:5]
	v_lshrrev_b32_e32 v6, 6, v30
	v_mbcnt_lo_u32_b32 v30, v4, 0
	v_mbcnt_hi_u32_b32 v30, v5, v30
	v_cmp_eq_u32_e64 s[40:41], 0, v30
	v_lshl_add_u32 v31, v6, 2, v32
	s_and_b64 s[42:43], vcc, s[40:41]
	s_and_saveexec_b64 s[40:41], s[42:43]
; %bb.38:
	v_bcnt_u32_b32 v4, v4, 0
	v_bcnt_u32_b32 v4, v5, v4
	ds_write_b32 v31, v4 offset:16
; %bb.39:
	s_or_b64 exec, exec, s[40:41]
	v_lshrrev_b32_e32 v4, s92, v7
	v_and_b32_e32 v5, s94, v4
	v_mul_lo_u32 v4, v5, 20
	v_and_b32_e32 v34, 1, v5
	; wave barrier
	v_lshl_add_u32 v33, v6, 2, v4
	v_add_co_u32_e32 v4, vcc, -1, v34
	v_addc_co_u32_e64 v35, s[40:41], 0, -1, vcc
	v_cmp_ne_u32_e32 vcc, 0, v34
	v_xor_b32_e32 v4, vcc_lo, v4
	v_xor_b32_e32 v34, vcc_hi, v35
	v_and_b32_e32 v35, exec_lo, v4
	v_lshlrev_b32_e32 v4, 30, v5
	v_cmp_gt_i64_e32 vcc, 0, v[3:4]
	v_not_b32_e32 v4, v4
	v_ashrrev_i32_e32 v4, 31, v4
	v_xor_b32_e32 v36, vcc_hi, v4
	v_xor_b32_e32 v4, vcc_lo, v4
	v_and_b32_e32 v35, v35, v4
	v_lshlrev_b32_e32 v4, 29, v5
	v_cmp_gt_i64_e32 vcc, 0, v[3:4]
	v_not_b32_e32 v4, v4
	v_and_b32_e32 v34, exec_hi, v34
	v_ashrrev_i32_e32 v4, 31, v4
	v_and_b32_e32 v34, v34, v36
	v_xor_b32_e32 v36, vcc_hi, v4
	v_xor_b32_e32 v4, vcc_lo, v4
	v_and_b32_e32 v35, v35, v4
	v_lshlrev_b32_e32 v4, 28, v5
	v_cmp_gt_i64_e32 vcc, 0, v[3:4]
	v_not_b32_e32 v4, v4
	v_ashrrev_i32_e32 v4, 31, v4
	v_and_b32_e32 v34, v34, v36
	v_xor_b32_e32 v36, vcc_hi, v4
	v_xor_b32_e32 v4, vcc_lo, v4
	v_and_b32_e32 v35, v35, v4
	v_lshlrev_b32_e32 v4, 27, v5
	v_cmp_gt_i64_e32 vcc, 0, v[3:4]
	v_not_b32_e32 v4, v4
	;; [unrolled: 8-line block ×5, first 2 shown]
	v_ashrrev_i32_e32 v3, 31, v3
	v_xor_b32_e32 v4, vcc_hi, v3
	v_xor_b32_e32 v3, vcc_lo, v3
	ds_read_b32 v32, v33 offset:16
	v_and_b32_e32 v34, v34, v36
	v_and_b32_e32 v3, v35, v3
	;; [unrolled: 1-line block ×3, first 2 shown]
	v_mbcnt_lo_u32_b32 v5, v3, 0
	v_mbcnt_hi_u32_b32 v34, v4, v5
	v_cmp_ne_u64_e32 vcc, 0, v[3:4]
	v_cmp_eq_u32_e64 s[40:41], 0, v34
	s_and_b64 s[42:43], vcc, s[40:41]
	; wave barrier
	s_and_saveexec_b64 s[40:41], s[42:43]
	s_cbranch_execz .LBB25_41
; %bb.40:
	v_bcnt_u32_b32 v3, v3, 0
	v_bcnt_u32_b32 v3, v4, v3
	s_waitcnt lgkmcnt(0)
	v_add_u32_e32 v3, v32, v3
	ds_write_b32 v33, v3 offset:16
.LBB25_41:
	s_or_b64 exec, exec, s[40:41]
	v_lshrrev_b32_e32 v3, s92, v13
	v_and_b32_e32 v5, s94, v3
	v_mul_lo_u32 v3, v5, 20
	v_and_b32_e32 v4, 1, v5
	v_add_co_u32_e32 v37, vcc, -1, v4
	v_addc_co_u32_e64 v38, s[40:41], 0, -1, vcc
	v_cmp_ne_u32_e32 vcc, 0, v4
	v_xor_b32_e32 v4, vcc_hi, v38
	v_lshl_add_u32 v36, v6, 2, v3
	v_mov_b32_e32 v3, 0
	v_and_b32_e32 v38, exec_hi, v4
	v_lshlrev_b32_e32 v4, 30, v5
	v_xor_b32_e32 v37, vcc_lo, v37
	v_cmp_gt_i64_e32 vcc, 0, v[3:4]
	v_not_b32_e32 v4, v4
	v_ashrrev_i32_e32 v4, 31, v4
	v_and_b32_e32 v37, exec_lo, v37
	v_xor_b32_e32 v39, vcc_hi, v4
	v_xor_b32_e32 v4, vcc_lo, v4
	v_and_b32_e32 v37, v37, v4
	v_lshlrev_b32_e32 v4, 29, v5
	v_cmp_gt_i64_e32 vcc, 0, v[3:4]
	v_not_b32_e32 v4, v4
	v_ashrrev_i32_e32 v4, 31, v4
	v_and_b32_e32 v38, v38, v39
	v_xor_b32_e32 v39, vcc_hi, v4
	v_xor_b32_e32 v4, vcc_lo, v4
	v_and_b32_e32 v37, v37, v4
	v_lshlrev_b32_e32 v4, 28, v5
	v_cmp_gt_i64_e32 vcc, 0, v[3:4]
	v_not_b32_e32 v4, v4
	v_ashrrev_i32_e32 v4, 31, v4
	v_and_b32_e32 v38, v38, v39
	;; [unrolled: 8-line block ×5, first 2 shown]
	v_xor_b32_e32 v39, vcc_hi, v4
	v_xor_b32_e32 v4, vcc_lo, v4
	v_and_b32_e32 v37, v37, v4
	v_lshlrev_b32_e32 v4, 24, v5
	v_cmp_gt_i64_e32 vcc, 0, v[3:4]
	v_not_b32_e32 v4, v4
	v_ashrrev_i32_e32 v4, 31, v4
	v_xor_b32_e32 v5, vcc_hi, v4
	v_xor_b32_e32 v4, vcc_lo, v4
	; wave barrier
	ds_read_b32 v35, v36 offset:16
	v_and_b32_e32 v38, v38, v39
	v_and_b32_e32 v4, v37, v4
	;; [unrolled: 1-line block ×3, first 2 shown]
	v_mbcnt_lo_u32_b32 v37, v4, 0
	v_mbcnt_hi_u32_b32 v37, v5, v37
	v_cmp_ne_u64_e32 vcc, 0, v[4:5]
	v_cmp_eq_u32_e64 s[40:41], 0, v37
	s_and_b64 s[42:43], vcc, s[40:41]
	; wave barrier
	s_and_saveexec_b64 s[40:41], s[42:43]
	s_cbranch_execz .LBB25_43
; %bb.42:
	v_bcnt_u32_b32 v4, v4, 0
	v_bcnt_u32_b32 v4, v5, v4
	s_waitcnt lgkmcnt(0)
	v_add_u32_e32 v4, v35, v4
	ds_write_b32 v36, v4 offset:16
.LBB25_43:
	s_or_b64 exec, exec, s[40:41]
	v_lshrrev_b32_e32 v4, s92, v12
	v_and_b32_e32 v5, s94, v4
	v_mul_lo_u32 v4, v5, 20
	v_and_b32_e32 v40, 1, v5
	; wave barrier
	v_lshl_add_u32 v39, v6, 2, v4
	v_add_co_u32_e32 v4, vcc, -1, v40
	v_addc_co_u32_e64 v41, s[40:41], 0, -1, vcc
	v_cmp_ne_u32_e32 vcc, 0, v40
	v_xor_b32_e32 v4, vcc_lo, v4
	v_xor_b32_e32 v40, vcc_hi, v41
	v_and_b32_e32 v41, exec_lo, v4
	v_lshlrev_b32_e32 v4, 30, v5
	v_cmp_gt_i64_e32 vcc, 0, v[3:4]
	v_not_b32_e32 v4, v4
	v_ashrrev_i32_e32 v4, 31, v4
	v_xor_b32_e32 v42, vcc_hi, v4
	v_xor_b32_e32 v4, vcc_lo, v4
	v_and_b32_e32 v41, v41, v4
	v_lshlrev_b32_e32 v4, 29, v5
	v_cmp_gt_i64_e32 vcc, 0, v[3:4]
	v_not_b32_e32 v4, v4
	v_and_b32_e32 v40, exec_hi, v40
	v_ashrrev_i32_e32 v4, 31, v4
	v_and_b32_e32 v40, v40, v42
	v_xor_b32_e32 v42, vcc_hi, v4
	v_xor_b32_e32 v4, vcc_lo, v4
	v_and_b32_e32 v41, v41, v4
	v_lshlrev_b32_e32 v4, 28, v5
	v_cmp_gt_i64_e32 vcc, 0, v[3:4]
	v_not_b32_e32 v4, v4
	v_ashrrev_i32_e32 v4, 31, v4
	v_and_b32_e32 v40, v40, v42
	v_xor_b32_e32 v42, vcc_hi, v4
	v_xor_b32_e32 v4, vcc_lo, v4
	v_and_b32_e32 v41, v41, v4
	v_lshlrev_b32_e32 v4, 27, v5
	v_cmp_gt_i64_e32 vcc, 0, v[3:4]
	v_not_b32_e32 v4, v4
	;; [unrolled: 8-line block ×5, first 2 shown]
	v_ashrrev_i32_e32 v3, 31, v3
	v_xor_b32_e32 v4, vcc_hi, v3
	v_xor_b32_e32 v3, vcc_lo, v3
	ds_read_b32 v38, v39 offset:16
	v_and_b32_e32 v40, v40, v42
	v_and_b32_e32 v3, v41, v3
	v_and_b32_e32 v4, v40, v4
	v_mbcnt_lo_u32_b32 v5, v3, 0
	v_mbcnt_hi_u32_b32 v40, v4, v5
	v_cmp_ne_u64_e32 vcc, 0, v[3:4]
	v_cmp_eq_u32_e64 s[40:41], 0, v40
	s_and_b64 s[42:43], vcc, s[40:41]
	; wave barrier
	s_and_saveexec_b64 s[40:41], s[42:43]
	s_cbranch_execz .LBB25_45
; %bb.44:
	v_bcnt_u32_b32 v3, v3, 0
	v_bcnt_u32_b32 v3, v4, v3
	s_waitcnt lgkmcnt(0)
	v_add_u32_e32 v3, v38, v3
	ds_write_b32 v39, v3 offset:16
.LBB25_45:
	s_or_b64 exec, exec, s[40:41]
	v_lshrrev_b32_e32 v3, s92, v15
	v_and_b32_e32 v5, s94, v3
	v_mul_lo_u32 v3, v5, 20
	v_and_b32_e32 v4, 1, v5
	v_add_co_u32_e32 v43, vcc, -1, v4
	v_addc_co_u32_e64 v44, s[40:41], 0, -1, vcc
	v_cmp_ne_u32_e32 vcc, 0, v4
	v_xor_b32_e32 v4, vcc_hi, v44
	v_lshl_add_u32 v42, v6, 2, v3
	v_mov_b32_e32 v3, 0
	v_and_b32_e32 v44, exec_hi, v4
	v_lshlrev_b32_e32 v4, 30, v5
	v_xor_b32_e32 v43, vcc_lo, v43
	v_cmp_gt_i64_e32 vcc, 0, v[3:4]
	v_not_b32_e32 v4, v4
	v_ashrrev_i32_e32 v4, 31, v4
	v_and_b32_e32 v43, exec_lo, v43
	v_xor_b32_e32 v45, vcc_hi, v4
	v_xor_b32_e32 v4, vcc_lo, v4
	v_and_b32_e32 v43, v43, v4
	v_lshlrev_b32_e32 v4, 29, v5
	v_cmp_gt_i64_e32 vcc, 0, v[3:4]
	v_not_b32_e32 v4, v4
	v_ashrrev_i32_e32 v4, 31, v4
	v_and_b32_e32 v44, v44, v45
	v_xor_b32_e32 v45, vcc_hi, v4
	v_xor_b32_e32 v4, vcc_lo, v4
	v_and_b32_e32 v43, v43, v4
	v_lshlrev_b32_e32 v4, 28, v5
	v_cmp_gt_i64_e32 vcc, 0, v[3:4]
	v_not_b32_e32 v4, v4
	v_ashrrev_i32_e32 v4, 31, v4
	v_and_b32_e32 v44, v44, v45
	;; [unrolled: 8-line block ×5, first 2 shown]
	v_xor_b32_e32 v45, vcc_hi, v4
	v_xor_b32_e32 v4, vcc_lo, v4
	v_and_b32_e32 v43, v43, v4
	v_lshlrev_b32_e32 v4, 24, v5
	v_cmp_gt_i64_e32 vcc, 0, v[3:4]
	v_not_b32_e32 v4, v4
	v_ashrrev_i32_e32 v4, 31, v4
	v_xor_b32_e32 v5, vcc_hi, v4
	v_xor_b32_e32 v4, vcc_lo, v4
	; wave barrier
	ds_read_b32 v41, v42 offset:16
	v_and_b32_e32 v44, v44, v45
	v_and_b32_e32 v4, v43, v4
	;; [unrolled: 1-line block ×3, first 2 shown]
	v_mbcnt_lo_u32_b32 v43, v4, 0
	v_mbcnt_hi_u32_b32 v43, v5, v43
	v_cmp_ne_u64_e32 vcc, 0, v[4:5]
	v_cmp_eq_u32_e64 s[40:41], 0, v43
	s_and_b64 s[42:43], vcc, s[40:41]
	; wave barrier
	s_and_saveexec_b64 s[40:41], s[42:43]
	s_cbranch_execz .LBB25_47
; %bb.46:
	v_bcnt_u32_b32 v4, v4, 0
	v_bcnt_u32_b32 v4, v5, v4
	s_waitcnt lgkmcnt(0)
	v_add_u32_e32 v4, v41, v4
	ds_write_b32 v42, v4 offset:16
.LBB25_47:
	s_or_b64 exec, exec, s[40:41]
	v_lshrrev_b32_e32 v4, s92, v14
	v_and_b32_e32 v5, s94, v4
	v_mul_lo_u32 v4, v5, 20
	v_and_b32_e32 v46, 1, v5
	; wave barrier
	v_lshl_add_u32 v45, v6, 2, v4
	v_add_co_u32_e32 v4, vcc, -1, v46
	v_addc_co_u32_e64 v47, s[40:41], 0, -1, vcc
	v_cmp_ne_u32_e32 vcc, 0, v46
	v_xor_b32_e32 v4, vcc_lo, v4
	v_xor_b32_e32 v46, vcc_hi, v47
	v_and_b32_e32 v47, exec_lo, v4
	v_lshlrev_b32_e32 v4, 30, v5
	v_cmp_gt_i64_e32 vcc, 0, v[3:4]
	v_not_b32_e32 v4, v4
	v_ashrrev_i32_e32 v4, 31, v4
	v_xor_b32_e32 v48, vcc_hi, v4
	v_xor_b32_e32 v4, vcc_lo, v4
	v_and_b32_e32 v47, v47, v4
	v_lshlrev_b32_e32 v4, 29, v5
	v_cmp_gt_i64_e32 vcc, 0, v[3:4]
	v_not_b32_e32 v4, v4
	v_and_b32_e32 v46, exec_hi, v46
	v_ashrrev_i32_e32 v4, 31, v4
	v_and_b32_e32 v46, v46, v48
	v_xor_b32_e32 v48, vcc_hi, v4
	v_xor_b32_e32 v4, vcc_lo, v4
	v_and_b32_e32 v47, v47, v4
	v_lshlrev_b32_e32 v4, 28, v5
	v_cmp_gt_i64_e32 vcc, 0, v[3:4]
	v_not_b32_e32 v4, v4
	v_ashrrev_i32_e32 v4, 31, v4
	v_and_b32_e32 v46, v46, v48
	v_xor_b32_e32 v48, vcc_hi, v4
	v_xor_b32_e32 v4, vcc_lo, v4
	v_and_b32_e32 v47, v47, v4
	v_lshlrev_b32_e32 v4, 27, v5
	v_cmp_gt_i64_e32 vcc, 0, v[3:4]
	v_not_b32_e32 v4, v4
	v_ashrrev_i32_e32 v4, 31, v4
	v_and_b32_e32 v46, v46, v48
	v_xor_b32_e32 v48, vcc_hi, v4
	v_xor_b32_e32 v4, vcc_lo, v4
	v_and_b32_e32 v47, v47, v4
	v_lshlrev_b32_e32 v4, 26, v5
	v_cmp_gt_i64_e32 vcc, 0, v[3:4]
	v_not_b32_e32 v4, v4
	v_ashrrev_i32_e32 v4, 31, v4
	v_and_b32_e32 v46, v46, v48
	v_xor_b32_e32 v48, vcc_hi, v4
	v_xor_b32_e32 v4, vcc_lo, v4
	v_and_b32_e32 v47, v47, v4
	v_lshlrev_b32_e32 v4, 25, v5
	v_cmp_gt_i64_e32 vcc, 0, v[3:4]
	v_not_b32_e32 v4, v4
	v_ashrrev_i32_e32 v4, 31, v4
	v_and_b32_e32 v46, v46, v48
	v_xor_b32_e32 v48, vcc_hi, v4
	v_xor_b32_e32 v4, vcc_lo, v4
	v_and_b32_e32 v47, v47, v4
	v_lshlrev_b32_e32 v4, 24, v5
	v_cmp_gt_i64_e32 vcc, 0, v[3:4]
	v_not_b32_e32 v3, v4
	v_ashrrev_i32_e32 v3, 31, v3
	v_xor_b32_e32 v4, vcc_hi, v3
	v_xor_b32_e32 v3, vcc_lo, v3
	ds_read_b32 v44, v45 offset:16
	v_and_b32_e32 v46, v46, v48
	v_and_b32_e32 v3, v47, v3
	;; [unrolled: 1-line block ×3, first 2 shown]
	v_mbcnt_lo_u32_b32 v5, v3, 0
	v_mbcnt_hi_u32_b32 v46, v4, v5
	v_cmp_ne_u64_e32 vcc, 0, v[3:4]
	v_cmp_eq_u32_e64 s[40:41], 0, v46
	s_and_b64 s[42:43], vcc, s[40:41]
	; wave barrier
	s_and_saveexec_b64 s[40:41], s[42:43]
	s_cbranch_execz .LBB25_49
; %bb.48:
	v_bcnt_u32_b32 v3, v3, 0
	v_bcnt_u32_b32 v3, v4, v3
	s_waitcnt lgkmcnt(0)
	v_add_u32_e32 v3, v44, v3
	ds_write_b32 v45, v3 offset:16
.LBB25_49:
	s_or_b64 exec, exec, s[40:41]
	v_lshrrev_b32_e32 v3, s92, v17
	v_and_b32_e32 v5, s94, v3
	v_mul_lo_u32 v3, v5, 20
	v_and_b32_e32 v4, 1, v5
	v_add_co_u32_e32 v49, vcc, -1, v4
	v_addc_co_u32_e64 v50, s[40:41], 0, -1, vcc
	v_cmp_ne_u32_e32 vcc, 0, v4
	v_xor_b32_e32 v4, vcc_hi, v50
	v_lshl_add_u32 v48, v6, 2, v3
	v_mov_b32_e32 v3, 0
	v_and_b32_e32 v50, exec_hi, v4
	v_lshlrev_b32_e32 v4, 30, v5
	v_xor_b32_e32 v49, vcc_lo, v49
	v_cmp_gt_i64_e32 vcc, 0, v[3:4]
	v_not_b32_e32 v4, v4
	v_ashrrev_i32_e32 v4, 31, v4
	v_and_b32_e32 v49, exec_lo, v49
	v_xor_b32_e32 v51, vcc_hi, v4
	v_xor_b32_e32 v4, vcc_lo, v4
	v_and_b32_e32 v49, v49, v4
	v_lshlrev_b32_e32 v4, 29, v5
	v_cmp_gt_i64_e32 vcc, 0, v[3:4]
	v_not_b32_e32 v4, v4
	v_ashrrev_i32_e32 v4, 31, v4
	v_and_b32_e32 v50, v50, v51
	v_xor_b32_e32 v51, vcc_hi, v4
	v_xor_b32_e32 v4, vcc_lo, v4
	v_and_b32_e32 v49, v49, v4
	v_lshlrev_b32_e32 v4, 28, v5
	v_cmp_gt_i64_e32 vcc, 0, v[3:4]
	v_not_b32_e32 v4, v4
	v_ashrrev_i32_e32 v4, 31, v4
	v_and_b32_e32 v50, v50, v51
	;; [unrolled: 8-line block ×5, first 2 shown]
	v_xor_b32_e32 v51, vcc_hi, v4
	v_xor_b32_e32 v4, vcc_lo, v4
	v_and_b32_e32 v49, v49, v4
	v_lshlrev_b32_e32 v4, 24, v5
	v_cmp_gt_i64_e32 vcc, 0, v[3:4]
	v_not_b32_e32 v4, v4
	v_ashrrev_i32_e32 v4, 31, v4
	v_xor_b32_e32 v5, vcc_hi, v4
	v_xor_b32_e32 v4, vcc_lo, v4
	; wave barrier
	ds_read_b32 v47, v48 offset:16
	v_and_b32_e32 v50, v50, v51
	v_and_b32_e32 v4, v49, v4
	;; [unrolled: 1-line block ×3, first 2 shown]
	v_mbcnt_lo_u32_b32 v49, v4, 0
	v_mbcnt_hi_u32_b32 v49, v5, v49
	v_cmp_ne_u64_e32 vcc, 0, v[4:5]
	v_cmp_eq_u32_e64 s[40:41], 0, v49
	s_and_b64 s[42:43], vcc, s[40:41]
	; wave barrier
	s_and_saveexec_b64 s[40:41], s[42:43]
	s_cbranch_execz .LBB25_51
; %bb.50:
	v_bcnt_u32_b32 v4, v4, 0
	v_bcnt_u32_b32 v4, v5, v4
	s_waitcnt lgkmcnt(0)
	v_add_u32_e32 v4, v47, v4
	ds_write_b32 v48, v4 offset:16
.LBB25_51:
	s_or_b64 exec, exec, s[40:41]
	v_lshrrev_b32_e32 v4, s92, v16
	v_and_b32_e32 v5, s94, v4
	v_mul_lo_u32 v4, v5, 20
	v_and_b32_e32 v52, 1, v5
	; wave barrier
	v_lshl_add_u32 v51, v6, 2, v4
	v_add_co_u32_e32 v4, vcc, -1, v52
	v_addc_co_u32_e64 v53, s[40:41], 0, -1, vcc
	v_cmp_ne_u32_e32 vcc, 0, v52
	v_xor_b32_e32 v4, vcc_lo, v4
	v_xor_b32_e32 v52, vcc_hi, v53
	v_and_b32_e32 v53, exec_lo, v4
	v_lshlrev_b32_e32 v4, 30, v5
	v_cmp_gt_i64_e32 vcc, 0, v[3:4]
	v_not_b32_e32 v4, v4
	v_ashrrev_i32_e32 v4, 31, v4
	v_xor_b32_e32 v54, vcc_hi, v4
	v_xor_b32_e32 v4, vcc_lo, v4
	v_and_b32_e32 v53, v53, v4
	v_lshlrev_b32_e32 v4, 29, v5
	v_cmp_gt_i64_e32 vcc, 0, v[3:4]
	v_not_b32_e32 v4, v4
	v_and_b32_e32 v52, exec_hi, v52
	v_ashrrev_i32_e32 v4, 31, v4
	v_and_b32_e32 v52, v52, v54
	v_xor_b32_e32 v54, vcc_hi, v4
	v_xor_b32_e32 v4, vcc_lo, v4
	v_and_b32_e32 v53, v53, v4
	v_lshlrev_b32_e32 v4, 28, v5
	v_cmp_gt_i64_e32 vcc, 0, v[3:4]
	v_not_b32_e32 v4, v4
	v_ashrrev_i32_e32 v4, 31, v4
	v_and_b32_e32 v52, v52, v54
	v_xor_b32_e32 v54, vcc_hi, v4
	v_xor_b32_e32 v4, vcc_lo, v4
	v_and_b32_e32 v53, v53, v4
	v_lshlrev_b32_e32 v4, 27, v5
	v_cmp_gt_i64_e32 vcc, 0, v[3:4]
	v_not_b32_e32 v4, v4
	;; [unrolled: 8-line block ×5, first 2 shown]
	v_ashrrev_i32_e32 v3, 31, v3
	v_xor_b32_e32 v4, vcc_hi, v3
	v_xor_b32_e32 v3, vcc_lo, v3
	ds_read_b32 v50, v51 offset:16
	v_and_b32_e32 v52, v52, v54
	v_and_b32_e32 v3, v53, v3
	;; [unrolled: 1-line block ×3, first 2 shown]
	v_mbcnt_lo_u32_b32 v5, v3, 0
	v_mbcnt_hi_u32_b32 v52, v4, v5
	v_cmp_ne_u64_e32 vcc, 0, v[3:4]
	v_cmp_eq_u32_e64 s[40:41], 0, v52
	s_and_b64 s[42:43], vcc, s[40:41]
	; wave barrier
	s_and_saveexec_b64 s[40:41], s[42:43]
	s_cbranch_execz .LBB25_53
; %bb.52:
	v_bcnt_u32_b32 v3, v3, 0
	v_bcnt_u32_b32 v3, v4, v3
	s_waitcnt lgkmcnt(0)
	v_add_u32_e32 v3, v50, v3
	ds_write_b32 v51, v3 offset:16
.LBB25_53:
	s_or_b64 exec, exec, s[40:41]
	v_lshrrev_b32_e32 v3, s92, v19
	v_and_b32_e32 v5, s94, v3
	v_mul_lo_u32 v3, v5, 20
	v_and_b32_e32 v4, 1, v5
	v_add_co_u32_e32 v55, vcc, -1, v4
	v_addc_co_u32_e64 v56, s[40:41], 0, -1, vcc
	v_cmp_ne_u32_e32 vcc, 0, v4
	v_xor_b32_e32 v4, vcc_hi, v56
	v_lshl_add_u32 v54, v6, 2, v3
	v_mov_b32_e32 v3, 0
	v_and_b32_e32 v56, exec_hi, v4
	v_lshlrev_b32_e32 v4, 30, v5
	v_xor_b32_e32 v55, vcc_lo, v55
	v_cmp_gt_i64_e32 vcc, 0, v[3:4]
	v_not_b32_e32 v4, v4
	v_ashrrev_i32_e32 v4, 31, v4
	v_and_b32_e32 v55, exec_lo, v55
	v_xor_b32_e32 v57, vcc_hi, v4
	v_xor_b32_e32 v4, vcc_lo, v4
	v_and_b32_e32 v55, v55, v4
	v_lshlrev_b32_e32 v4, 29, v5
	v_cmp_gt_i64_e32 vcc, 0, v[3:4]
	v_not_b32_e32 v4, v4
	v_ashrrev_i32_e32 v4, 31, v4
	v_and_b32_e32 v56, v56, v57
	v_xor_b32_e32 v57, vcc_hi, v4
	v_xor_b32_e32 v4, vcc_lo, v4
	v_and_b32_e32 v55, v55, v4
	v_lshlrev_b32_e32 v4, 28, v5
	v_cmp_gt_i64_e32 vcc, 0, v[3:4]
	v_not_b32_e32 v4, v4
	v_ashrrev_i32_e32 v4, 31, v4
	v_and_b32_e32 v56, v56, v57
	;; [unrolled: 8-line block ×5, first 2 shown]
	v_xor_b32_e32 v57, vcc_hi, v4
	v_xor_b32_e32 v4, vcc_lo, v4
	v_and_b32_e32 v55, v55, v4
	v_lshlrev_b32_e32 v4, 24, v5
	v_cmp_gt_i64_e32 vcc, 0, v[3:4]
	v_not_b32_e32 v4, v4
	v_ashrrev_i32_e32 v4, 31, v4
	v_xor_b32_e32 v5, vcc_hi, v4
	v_xor_b32_e32 v4, vcc_lo, v4
	; wave barrier
	ds_read_b32 v53, v54 offset:16
	v_and_b32_e32 v56, v56, v57
	v_and_b32_e32 v4, v55, v4
	;; [unrolled: 1-line block ×3, first 2 shown]
	v_mbcnt_lo_u32_b32 v55, v4, 0
	v_mbcnt_hi_u32_b32 v55, v5, v55
	v_cmp_ne_u64_e32 vcc, 0, v[4:5]
	v_cmp_eq_u32_e64 s[40:41], 0, v55
	s_and_b64 s[42:43], vcc, s[40:41]
	; wave barrier
	s_and_saveexec_b64 s[40:41], s[42:43]
	s_cbranch_execz .LBB25_55
; %bb.54:
	v_bcnt_u32_b32 v4, v4, 0
	v_bcnt_u32_b32 v4, v5, v4
	s_waitcnt lgkmcnt(0)
	v_add_u32_e32 v4, v53, v4
	ds_write_b32 v54, v4 offset:16
.LBB25_55:
	s_or_b64 exec, exec, s[40:41]
	v_lshrrev_b32_e32 v4, s92, v18
	v_and_b32_e32 v5, s94, v4
	v_mul_lo_u32 v4, v5, 20
	v_and_b32_e32 v58, 1, v5
	; wave barrier
	v_lshl_add_u32 v57, v6, 2, v4
	v_add_co_u32_e32 v4, vcc, -1, v58
	v_addc_co_u32_e64 v59, s[40:41], 0, -1, vcc
	v_cmp_ne_u32_e32 vcc, 0, v58
	v_xor_b32_e32 v4, vcc_lo, v4
	v_xor_b32_e32 v58, vcc_hi, v59
	v_and_b32_e32 v59, exec_lo, v4
	v_lshlrev_b32_e32 v4, 30, v5
	v_cmp_gt_i64_e32 vcc, 0, v[3:4]
	v_not_b32_e32 v4, v4
	v_ashrrev_i32_e32 v4, 31, v4
	v_xor_b32_e32 v60, vcc_hi, v4
	v_xor_b32_e32 v4, vcc_lo, v4
	v_and_b32_e32 v59, v59, v4
	v_lshlrev_b32_e32 v4, 29, v5
	v_cmp_gt_i64_e32 vcc, 0, v[3:4]
	v_not_b32_e32 v4, v4
	v_and_b32_e32 v58, exec_hi, v58
	v_ashrrev_i32_e32 v4, 31, v4
	v_and_b32_e32 v58, v58, v60
	v_xor_b32_e32 v60, vcc_hi, v4
	v_xor_b32_e32 v4, vcc_lo, v4
	v_and_b32_e32 v59, v59, v4
	v_lshlrev_b32_e32 v4, 28, v5
	v_cmp_gt_i64_e32 vcc, 0, v[3:4]
	v_not_b32_e32 v4, v4
	v_ashrrev_i32_e32 v4, 31, v4
	v_and_b32_e32 v58, v58, v60
	v_xor_b32_e32 v60, vcc_hi, v4
	v_xor_b32_e32 v4, vcc_lo, v4
	v_and_b32_e32 v59, v59, v4
	v_lshlrev_b32_e32 v4, 27, v5
	v_cmp_gt_i64_e32 vcc, 0, v[3:4]
	v_not_b32_e32 v4, v4
	;; [unrolled: 8-line block ×5, first 2 shown]
	v_ashrrev_i32_e32 v3, 31, v3
	v_xor_b32_e32 v4, vcc_hi, v3
	v_xor_b32_e32 v3, vcc_lo, v3
	ds_read_b32 v56, v57 offset:16
	v_and_b32_e32 v58, v58, v60
	v_and_b32_e32 v3, v59, v3
	;; [unrolled: 1-line block ×3, first 2 shown]
	v_mbcnt_lo_u32_b32 v5, v3, 0
	v_mbcnt_hi_u32_b32 v58, v4, v5
	v_cmp_ne_u64_e32 vcc, 0, v[3:4]
	v_cmp_eq_u32_e64 s[40:41], 0, v58
	s_and_b64 s[42:43], vcc, s[40:41]
	; wave barrier
	s_and_saveexec_b64 s[40:41], s[42:43]
	s_cbranch_execz .LBB25_57
; %bb.56:
	v_bcnt_u32_b32 v3, v3, 0
	v_bcnt_u32_b32 v3, v4, v3
	s_waitcnt lgkmcnt(0)
	v_add_u32_e32 v3, v56, v3
	ds_write_b32 v57, v3 offset:16
.LBB25_57:
	s_or_b64 exec, exec, s[40:41]
	v_lshrrev_b32_e32 v3, s92, v22
	v_and_b32_e32 v5, s94, v3
	v_mul_lo_u32 v3, v5, 20
	v_and_b32_e32 v4, 1, v5
	v_add_co_u32_e32 v61, vcc, -1, v4
	v_addc_co_u32_e64 v62, s[40:41], 0, -1, vcc
	v_cmp_ne_u32_e32 vcc, 0, v4
	v_xor_b32_e32 v4, vcc_hi, v62
	v_lshl_add_u32 v60, v6, 2, v3
	v_mov_b32_e32 v3, 0
	v_and_b32_e32 v62, exec_hi, v4
	v_lshlrev_b32_e32 v4, 30, v5
	v_xor_b32_e32 v61, vcc_lo, v61
	v_cmp_gt_i64_e32 vcc, 0, v[3:4]
	v_not_b32_e32 v4, v4
	v_ashrrev_i32_e32 v4, 31, v4
	v_and_b32_e32 v61, exec_lo, v61
	v_xor_b32_e32 v63, vcc_hi, v4
	v_xor_b32_e32 v4, vcc_lo, v4
	v_and_b32_e32 v61, v61, v4
	v_lshlrev_b32_e32 v4, 29, v5
	v_cmp_gt_i64_e32 vcc, 0, v[3:4]
	v_not_b32_e32 v4, v4
	v_ashrrev_i32_e32 v4, 31, v4
	v_and_b32_e32 v62, v62, v63
	v_xor_b32_e32 v63, vcc_hi, v4
	v_xor_b32_e32 v4, vcc_lo, v4
	v_and_b32_e32 v61, v61, v4
	v_lshlrev_b32_e32 v4, 28, v5
	v_cmp_gt_i64_e32 vcc, 0, v[3:4]
	v_not_b32_e32 v4, v4
	v_ashrrev_i32_e32 v4, 31, v4
	v_and_b32_e32 v62, v62, v63
	;; [unrolled: 8-line block ×5, first 2 shown]
	v_xor_b32_e32 v63, vcc_hi, v4
	v_xor_b32_e32 v4, vcc_lo, v4
	v_and_b32_e32 v61, v61, v4
	v_lshlrev_b32_e32 v4, 24, v5
	v_cmp_gt_i64_e32 vcc, 0, v[3:4]
	v_not_b32_e32 v4, v4
	v_ashrrev_i32_e32 v4, 31, v4
	v_xor_b32_e32 v5, vcc_hi, v4
	v_xor_b32_e32 v4, vcc_lo, v4
	; wave barrier
	ds_read_b32 v59, v60 offset:16
	v_and_b32_e32 v62, v62, v63
	v_and_b32_e32 v4, v61, v4
	;; [unrolled: 1-line block ×3, first 2 shown]
	v_mbcnt_lo_u32_b32 v61, v4, 0
	v_mbcnt_hi_u32_b32 v61, v5, v61
	v_cmp_ne_u64_e32 vcc, 0, v[4:5]
	v_cmp_eq_u32_e64 s[40:41], 0, v61
	s_and_b64 s[42:43], vcc, s[40:41]
	; wave barrier
	s_and_saveexec_b64 s[40:41], s[42:43]
	s_cbranch_execz .LBB25_59
; %bb.58:
	v_bcnt_u32_b32 v4, v4, 0
	v_bcnt_u32_b32 v4, v5, v4
	s_waitcnt lgkmcnt(0)
	v_add_u32_e32 v4, v59, v4
	ds_write_b32 v60, v4 offset:16
.LBB25_59:
	s_or_b64 exec, exec, s[40:41]
	v_lshrrev_b32_e32 v4, s92, v21
	v_and_b32_e32 v5, s94, v4
	v_mul_lo_u32 v4, v5, 20
	v_and_b32_e32 v64, 1, v5
	; wave barrier
	v_lshl_add_u32 v63, v6, 2, v4
	v_add_co_u32_e32 v4, vcc, -1, v64
	v_addc_co_u32_e64 v65, s[40:41], 0, -1, vcc
	v_cmp_ne_u32_e32 vcc, 0, v64
	v_xor_b32_e32 v4, vcc_lo, v4
	v_xor_b32_e32 v64, vcc_hi, v65
	v_and_b32_e32 v65, exec_lo, v4
	v_lshlrev_b32_e32 v4, 30, v5
	v_cmp_gt_i64_e32 vcc, 0, v[3:4]
	v_not_b32_e32 v4, v4
	v_ashrrev_i32_e32 v4, 31, v4
	v_xor_b32_e32 v66, vcc_hi, v4
	v_xor_b32_e32 v4, vcc_lo, v4
	v_and_b32_e32 v65, v65, v4
	v_lshlrev_b32_e32 v4, 29, v5
	v_cmp_gt_i64_e32 vcc, 0, v[3:4]
	v_not_b32_e32 v4, v4
	v_and_b32_e32 v64, exec_hi, v64
	v_ashrrev_i32_e32 v4, 31, v4
	v_and_b32_e32 v64, v64, v66
	v_xor_b32_e32 v66, vcc_hi, v4
	v_xor_b32_e32 v4, vcc_lo, v4
	v_and_b32_e32 v65, v65, v4
	v_lshlrev_b32_e32 v4, 28, v5
	v_cmp_gt_i64_e32 vcc, 0, v[3:4]
	v_not_b32_e32 v4, v4
	v_ashrrev_i32_e32 v4, 31, v4
	v_and_b32_e32 v64, v64, v66
	v_xor_b32_e32 v66, vcc_hi, v4
	v_xor_b32_e32 v4, vcc_lo, v4
	v_and_b32_e32 v65, v65, v4
	v_lshlrev_b32_e32 v4, 27, v5
	v_cmp_gt_i64_e32 vcc, 0, v[3:4]
	v_not_b32_e32 v4, v4
	;; [unrolled: 8-line block ×5, first 2 shown]
	v_ashrrev_i32_e32 v3, 31, v3
	v_xor_b32_e32 v4, vcc_hi, v3
	v_xor_b32_e32 v3, vcc_lo, v3
	ds_read_b32 v62, v63 offset:16
	v_and_b32_e32 v64, v64, v66
	v_and_b32_e32 v3, v65, v3
	;; [unrolled: 1-line block ×3, first 2 shown]
	v_mbcnt_lo_u32_b32 v5, v3, 0
	v_mbcnt_hi_u32_b32 v64, v4, v5
	v_cmp_ne_u64_e32 vcc, 0, v[3:4]
	v_cmp_eq_u32_e64 s[40:41], 0, v64
	s_and_b64 s[42:43], vcc, s[40:41]
	; wave barrier
	s_and_saveexec_b64 s[40:41], s[42:43]
	s_cbranch_execz .LBB25_61
; %bb.60:
	v_bcnt_u32_b32 v3, v3, 0
	v_bcnt_u32_b32 v3, v4, v3
	s_waitcnt lgkmcnt(0)
	v_add_u32_e32 v3, v62, v3
	ds_write_b32 v63, v3 offset:16
.LBB25_61:
	s_or_b64 exec, exec, s[40:41]
	v_lshrrev_b32_e32 v3, s92, v24
	v_and_b32_e32 v5, s94, v3
	v_mul_lo_u32 v3, v5, 20
	v_and_b32_e32 v4, 1, v5
	v_add_co_u32_e32 v67, vcc, -1, v4
	v_addc_co_u32_e64 v68, s[40:41], 0, -1, vcc
	v_cmp_ne_u32_e32 vcc, 0, v4
	v_xor_b32_e32 v4, vcc_hi, v68
	v_lshl_add_u32 v66, v6, 2, v3
	v_mov_b32_e32 v3, 0
	v_and_b32_e32 v68, exec_hi, v4
	v_lshlrev_b32_e32 v4, 30, v5
	v_xor_b32_e32 v67, vcc_lo, v67
	v_cmp_gt_i64_e32 vcc, 0, v[3:4]
	v_not_b32_e32 v4, v4
	v_ashrrev_i32_e32 v4, 31, v4
	v_and_b32_e32 v67, exec_lo, v67
	v_xor_b32_e32 v69, vcc_hi, v4
	v_xor_b32_e32 v4, vcc_lo, v4
	v_and_b32_e32 v67, v67, v4
	v_lshlrev_b32_e32 v4, 29, v5
	v_cmp_gt_i64_e32 vcc, 0, v[3:4]
	v_not_b32_e32 v4, v4
	v_ashrrev_i32_e32 v4, 31, v4
	v_and_b32_e32 v68, v68, v69
	v_xor_b32_e32 v69, vcc_hi, v4
	v_xor_b32_e32 v4, vcc_lo, v4
	v_and_b32_e32 v67, v67, v4
	v_lshlrev_b32_e32 v4, 28, v5
	v_cmp_gt_i64_e32 vcc, 0, v[3:4]
	v_not_b32_e32 v4, v4
	v_ashrrev_i32_e32 v4, 31, v4
	v_and_b32_e32 v68, v68, v69
	;; [unrolled: 8-line block ×5, first 2 shown]
	v_xor_b32_e32 v69, vcc_hi, v4
	v_xor_b32_e32 v4, vcc_lo, v4
	v_and_b32_e32 v67, v67, v4
	v_lshlrev_b32_e32 v4, 24, v5
	v_cmp_gt_i64_e32 vcc, 0, v[3:4]
	v_not_b32_e32 v4, v4
	v_ashrrev_i32_e32 v4, 31, v4
	v_xor_b32_e32 v5, vcc_hi, v4
	v_xor_b32_e32 v4, vcc_lo, v4
	; wave barrier
	ds_read_b32 v65, v66 offset:16
	v_and_b32_e32 v68, v68, v69
	v_and_b32_e32 v4, v67, v4
	;; [unrolled: 1-line block ×3, first 2 shown]
	v_mbcnt_lo_u32_b32 v67, v4, 0
	v_mbcnt_hi_u32_b32 v67, v5, v67
	v_cmp_ne_u64_e32 vcc, 0, v[4:5]
	v_cmp_eq_u32_e64 s[40:41], 0, v67
	s_and_b64 s[42:43], vcc, s[40:41]
	; wave barrier
	s_and_saveexec_b64 s[40:41], s[42:43]
	s_cbranch_execz .LBB25_63
; %bb.62:
	v_bcnt_u32_b32 v4, v4, 0
	v_bcnt_u32_b32 v4, v5, v4
	s_waitcnt lgkmcnt(0)
	v_add_u32_e32 v4, v65, v4
	ds_write_b32 v66, v4 offset:16
.LBB25_63:
	s_or_b64 exec, exec, s[40:41]
	v_lshrrev_b32_e32 v4, s92, v23
	v_and_b32_e32 v5, s94, v4
	v_mul_lo_u32 v4, v5, 20
	v_and_b32_e32 v70, 1, v5
	; wave barrier
	v_lshl_add_u32 v69, v6, 2, v4
	v_add_co_u32_e32 v4, vcc, -1, v70
	v_addc_co_u32_e64 v71, s[40:41], 0, -1, vcc
	v_cmp_ne_u32_e32 vcc, 0, v70
	v_xor_b32_e32 v4, vcc_lo, v4
	v_xor_b32_e32 v70, vcc_hi, v71
	v_and_b32_e32 v71, exec_lo, v4
	v_lshlrev_b32_e32 v4, 30, v5
	v_cmp_gt_i64_e32 vcc, 0, v[3:4]
	v_not_b32_e32 v4, v4
	v_ashrrev_i32_e32 v4, 31, v4
	v_xor_b32_e32 v72, vcc_hi, v4
	v_xor_b32_e32 v4, vcc_lo, v4
	v_and_b32_e32 v71, v71, v4
	v_lshlrev_b32_e32 v4, 29, v5
	v_cmp_gt_i64_e32 vcc, 0, v[3:4]
	v_not_b32_e32 v4, v4
	v_and_b32_e32 v70, exec_hi, v70
	v_ashrrev_i32_e32 v4, 31, v4
	v_and_b32_e32 v70, v70, v72
	v_xor_b32_e32 v72, vcc_hi, v4
	v_xor_b32_e32 v4, vcc_lo, v4
	v_and_b32_e32 v71, v71, v4
	v_lshlrev_b32_e32 v4, 28, v5
	v_cmp_gt_i64_e32 vcc, 0, v[3:4]
	v_not_b32_e32 v4, v4
	v_ashrrev_i32_e32 v4, 31, v4
	v_and_b32_e32 v70, v70, v72
	v_xor_b32_e32 v72, vcc_hi, v4
	v_xor_b32_e32 v4, vcc_lo, v4
	v_and_b32_e32 v71, v71, v4
	v_lshlrev_b32_e32 v4, 27, v5
	v_cmp_gt_i64_e32 vcc, 0, v[3:4]
	v_not_b32_e32 v4, v4
	;; [unrolled: 8-line block ×5, first 2 shown]
	v_ashrrev_i32_e32 v3, 31, v3
	v_xor_b32_e32 v4, vcc_hi, v3
	v_xor_b32_e32 v3, vcc_lo, v3
	ds_read_b32 v68, v69 offset:16
	v_and_b32_e32 v70, v70, v72
	v_and_b32_e32 v3, v71, v3
	;; [unrolled: 1-line block ×3, first 2 shown]
	v_mbcnt_lo_u32_b32 v5, v3, 0
	v_mbcnt_hi_u32_b32 v70, v4, v5
	v_cmp_ne_u64_e32 vcc, 0, v[3:4]
	v_cmp_eq_u32_e64 s[40:41], 0, v70
	s_and_b64 s[42:43], vcc, s[40:41]
	; wave barrier
	s_and_saveexec_b64 s[40:41], s[42:43]
	s_cbranch_execz .LBB25_65
; %bb.64:
	v_bcnt_u32_b32 v3, v3, 0
	v_bcnt_u32_b32 v3, v4, v3
	s_waitcnt lgkmcnt(0)
	v_add_u32_e32 v3, v68, v3
	ds_write_b32 v69, v3 offset:16
.LBB25_65:
	s_or_b64 exec, exec, s[40:41]
	v_lshrrev_b32_e32 v3, s92, v26
	v_and_b32_e32 v5, s94, v3
	v_mul_lo_u32 v3, v5, 20
	v_and_b32_e32 v4, 1, v5
	v_add_co_u32_e32 v73, vcc, -1, v4
	v_addc_co_u32_e64 v74, s[40:41], 0, -1, vcc
	v_cmp_ne_u32_e32 vcc, 0, v4
	v_xor_b32_e32 v4, vcc_hi, v74
	v_lshl_add_u32 v72, v6, 2, v3
	v_mov_b32_e32 v3, 0
	v_and_b32_e32 v74, exec_hi, v4
	v_lshlrev_b32_e32 v4, 30, v5
	v_xor_b32_e32 v73, vcc_lo, v73
	v_cmp_gt_i64_e32 vcc, 0, v[3:4]
	v_not_b32_e32 v4, v4
	v_ashrrev_i32_e32 v4, 31, v4
	v_and_b32_e32 v73, exec_lo, v73
	v_xor_b32_e32 v75, vcc_hi, v4
	v_xor_b32_e32 v4, vcc_lo, v4
	v_and_b32_e32 v73, v73, v4
	v_lshlrev_b32_e32 v4, 29, v5
	v_cmp_gt_i64_e32 vcc, 0, v[3:4]
	v_not_b32_e32 v4, v4
	v_ashrrev_i32_e32 v4, 31, v4
	v_and_b32_e32 v74, v74, v75
	v_xor_b32_e32 v75, vcc_hi, v4
	v_xor_b32_e32 v4, vcc_lo, v4
	v_and_b32_e32 v73, v73, v4
	v_lshlrev_b32_e32 v4, 28, v5
	v_cmp_gt_i64_e32 vcc, 0, v[3:4]
	v_not_b32_e32 v4, v4
	v_ashrrev_i32_e32 v4, 31, v4
	v_and_b32_e32 v74, v74, v75
	;; [unrolled: 8-line block ×5, first 2 shown]
	v_xor_b32_e32 v75, vcc_hi, v4
	v_xor_b32_e32 v4, vcc_lo, v4
	v_and_b32_e32 v73, v73, v4
	v_lshlrev_b32_e32 v4, 24, v5
	v_cmp_gt_i64_e32 vcc, 0, v[3:4]
	v_not_b32_e32 v4, v4
	v_ashrrev_i32_e32 v4, 31, v4
	v_xor_b32_e32 v5, vcc_hi, v4
	v_xor_b32_e32 v4, vcc_lo, v4
	; wave barrier
	ds_read_b32 v71, v72 offset:16
	v_and_b32_e32 v74, v74, v75
	v_and_b32_e32 v4, v73, v4
	;; [unrolled: 1-line block ×3, first 2 shown]
	v_mbcnt_lo_u32_b32 v73, v4, 0
	v_mbcnt_hi_u32_b32 v73, v5, v73
	v_cmp_ne_u64_e32 vcc, 0, v[4:5]
	v_cmp_eq_u32_e64 s[40:41], 0, v73
	s_and_b64 s[42:43], vcc, s[40:41]
	; wave barrier
	s_and_saveexec_b64 s[40:41], s[42:43]
	s_cbranch_execz .LBB25_67
; %bb.66:
	v_bcnt_u32_b32 v4, v4, 0
	v_bcnt_u32_b32 v4, v5, v4
	s_waitcnt lgkmcnt(0)
	v_add_u32_e32 v4, v71, v4
	ds_write_b32 v72, v4 offset:16
.LBB25_67:
	s_or_b64 exec, exec, s[40:41]
	v_lshrrev_b32_e32 v4, s92, v25
	v_and_b32_e32 v5, s94, v4
	v_mul_lo_u32 v4, v5, 20
	v_and_b32_e32 v76, 1, v5
	; wave barrier
	v_lshl_add_u32 v75, v6, 2, v4
	v_add_co_u32_e32 v4, vcc, -1, v76
	v_addc_co_u32_e64 v77, s[40:41], 0, -1, vcc
	v_cmp_ne_u32_e32 vcc, 0, v76
	v_xor_b32_e32 v4, vcc_lo, v4
	v_xor_b32_e32 v76, vcc_hi, v77
	v_and_b32_e32 v77, exec_lo, v4
	v_lshlrev_b32_e32 v4, 30, v5
	v_cmp_gt_i64_e32 vcc, 0, v[3:4]
	v_not_b32_e32 v4, v4
	v_ashrrev_i32_e32 v4, 31, v4
	v_xor_b32_e32 v78, vcc_hi, v4
	v_xor_b32_e32 v4, vcc_lo, v4
	v_and_b32_e32 v77, v77, v4
	v_lshlrev_b32_e32 v4, 29, v5
	v_cmp_gt_i64_e32 vcc, 0, v[3:4]
	v_not_b32_e32 v4, v4
	v_and_b32_e32 v76, exec_hi, v76
	v_ashrrev_i32_e32 v4, 31, v4
	v_and_b32_e32 v76, v76, v78
	v_xor_b32_e32 v78, vcc_hi, v4
	v_xor_b32_e32 v4, vcc_lo, v4
	v_and_b32_e32 v77, v77, v4
	v_lshlrev_b32_e32 v4, 28, v5
	v_cmp_gt_i64_e32 vcc, 0, v[3:4]
	v_not_b32_e32 v4, v4
	v_ashrrev_i32_e32 v4, 31, v4
	v_and_b32_e32 v76, v76, v78
	v_xor_b32_e32 v78, vcc_hi, v4
	v_xor_b32_e32 v4, vcc_lo, v4
	v_and_b32_e32 v77, v77, v4
	v_lshlrev_b32_e32 v4, 27, v5
	v_cmp_gt_i64_e32 vcc, 0, v[3:4]
	v_not_b32_e32 v4, v4
	;; [unrolled: 8-line block ×5, first 2 shown]
	v_ashrrev_i32_e32 v3, 31, v3
	v_xor_b32_e32 v4, vcc_hi, v3
	v_xor_b32_e32 v3, vcc_lo, v3
	ds_read_b32 v74, v75 offset:16
	v_and_b32_e32 v76, v76, v78
	v_and_b32_e32 v3, v77, v3
	;; [unrolled: 1-line block ×3, first 2 shown]
	v_mbcnt_lo_u32_b32 v5, v3, 0
	v_mbcnt_hi_u32_b32 v76, v4, v5
	v_cmp_ne_u64_e32 vcc, 0, v[3:4]
	v_cmp_eq_u32_e64 s[40:41], 0, v76
	s_and_b64 s[42:43], vcc, s[40:41]
	; wave barrier
	s_and_saveexec_b64 s[40:41], s[42:43]
	s_cbranch_execz .LBB25_69
; %bb.68:
	v_bcnt_u32_b32 v3, v3, 0
	v_bcnt_u32_b32 v3, v4, v3
	s_waitcnt lgkmcnt(0)
	v_add_u32_e32 v3, v74, v3
	ds_write_b32 v75, v3 offset:16
.LBB25_69:
	s_or_b64 exec, exec, s[40:41]
	v_lshrrev_b32_e32 v3, s92, v28
	v_and_b32_e32 v5, s94, v3
	v_mul_lo_u32 v3, v5, 20
	v_and_b32_e32 v4, 1, v5
	v_add_co_u32_e32 v79, vcc, -1, v4
	v_addc_co_u32_e64 v80, s[40:41], 0, -1, vcc
	v_cmp_ne_u32_e32 vcc, 0, v4
	v_xor_b32_e32 v4, vcc_hi, v80
	v_lshl_add_u32 v78, v6, 2, v3
	v_mov_b32_e32 v3, 0
	v_and_b32_e32 v80, exec_hi, v4
	v_lshlrev_b32_e32 v4, 30, v5
	v_xor_b32_e32 v79, vcc_lo, v79
	v_cmp_gt_i64_e32 vcc, 0, v[3:4]
	v_not_b32_e32 v4, v4
	v_ashrrev_i32_e32 v4, 31, v4
	v_and_b32_e32 v79, exec_lo, v79
	v_xor_b32_e32 v81, vcc_hi, v4
	v_xor_b32_e32 v4, vcc_lo, v4
	v_and_b32_e32 v79, v79, v4
	v_lshlrev_b32_e32 v4, 29, v5
	v_cmp_gt_i64_e32 vcc, 0, v[3:4]
	v_not_b32_e32 v4, v4
	v_ashrrev_i32_e32 v4, 31, v4
	v_and_b32_e32 v80, v80, v81
	v_xor_b32_e32 v81, vcc_hi, v4
	v_xor_b32_e32 v4, vcc_lo, v4
	v_and_b32_e32 v79, v79, v4
	v_lshlrev_b32_e32 v4, 28, v5
	v_cmp_gt_i64_e32 vcc, 0, v[3:4]
	v_not_b32_e32 v4, v4
	v_ashrrev_i32_e32 v4, 31, v4
	v_and_b32_e32 v80, v80, v81
	;; [unrolled: 8-line block ×5, first 2 shown]
	v_xor_b32_e32 v81, vcc_hi, v4
	v_xor_b32_e32 v4, vcc_lo, v4
	v_and_b32_e32 v79, v79, v4
	v_lshlrev_b32_e32 v4, 24, v5
	v_cmp_gt_i64_e32 vcc, 0, v[3:4]
	v_not_b32_e32 v4, v4
	v_ashrrev_i32_e32 v4, 31, v4
	v_xor_b32_e32 v5, vcc_hi, v4
	v_xor_b32_e32 v4, vcc_lo, v4
	; wave barrier
	ds_read_b32 v77, v78 offset:16
	v_and_b32_e32 v80, v80, v81
	v_and_b32_e32 v4, v79, v4
	;; [unrolled: 1-line block ×3, first 2 shown]
	v_mbcnt_lo_u32_b32 v79, v4, 0
	v_mbcnt_hi_u32_b32 v79, v5, v79
	v_cmp_ne_u64_e32 vcc, 0, v[4:5]
	v_cmp_eq_u32_e64 s[40:41], 0, v79
	s_and_b64 s[42:43], vcc, s[40:41]
	; wave barrier
	s_and_saveexec_b64 s[40:41], s[42:43]
	s_cbranch_execz .LBB25_71
; %bb.70:
	v_bcnt_u32_b32 v4, v4, 0
	v_bcnt_u32_b32 v4, v5, v4
	s_waitcnt lgkmcnt(0)
	v_add_u32_e32 v4, v77, v4
	ds_write_b32 v78, v4 offset:16
.LBB25_71:
	s_or_b64 exec, exec, s[40:41]
	v_lshrrev_b32_e32 v4, s92, v27
	v_and_b32_e32 v5, s94, v4
	v_mul_lo_u32 v4, v5, 20
	v_and_b32_e32 v82, 1, v5
	; wave barrier
	v_lshl_add_u32 v81, v6, 2, v4
	v_add_co_u32_e32 v4, vcc, -1, v82
	v_addc_co_u32_e64 v6, s[40:41], 0, -1, vcc
	v_cmp_ne_u32_e32 vcc, 0, v82
	v_xor_b32_e32 v4, vcc_lo, v4
	v_and_b32_e32 v82, exec_lo, v4
	v_lshlrev_b32_e32 v4, 30, v5
	v_xor_b32_e32 v6, vcc_hi, v6
	v_cmp_gt_i64_e32 vcc, 0, v[3:4]
	v_not_b32_e32 v4, v4
	v_ashrrev_i32_e32 v4, 31, v4
	v_xor_b32_e32 v83, vcc_hi, v4
	v_xor_b32_e32 v4, vcc_lo, v4
	v_and_b32_e32 v82, v82, v4
	v_lshlrev_b32_e32 v4, 29, v5
	v_cmp_gt_i64_e32 vcc, 0, v[3:4]
	v_not_b32_e32 v4, v4
	v_and_b32_e32 v6, exec_hi, v6
	v_ashrrev_i32_e32 v4, 31, v4
	v_and_b32_e32 v6, v6, v83
	v_xor_b32_e32 v83, vcc_hi, v4
	v_xor_b32_e32 v4, vcc_lo, v4
	v_and_b32_e32 v82, v82, v4
	v_lshlrev_b32_e32 v4, 28, v5
	v_cmp_gt_i64_e32 vcc, 0, v[3:4]
	v_not_b32_e32 v4, v4
	v_ashrrev_i32_e32 v4, 31, v4
	v_and_b32_e32 v6, v6, v83
	v_xor_b32_e32 v83, vcc_hi, v4
	v_xor_b32_e32 v4, vcc_lo, v4
	v_and_b32_e32 v82, v82, v4
	v_lshlrev_b32_e32 v4, 27, v5
	v_cmp_gt_i64_e32 vcc, 0, v[3:4]
	v_not_b32_e32 v4, v4
	;; [unrolled: 8-line block ×5, first 2 shown]
	v_ashrrev_i32_e32 v3, 31, v3
	v_xor_b32_e32 v4, vcc_hi, v3
	v_xor_b32_e32 v3, vcc_lo, v3
	ds_read_b32 v80, v81 offset:16
	v_and_b32_e32 v6, v6, v83
	v_and_b32_e32 v3, v82, v3
	;; [unrolled: 1-line block ×3, first 2 shown]
	v_mbcnt_lo_u32_b32 v5, v3, 0
	v_mbcnt_hi_u32_b32 v82, v4, v5
	v_cmp_ne_u64_e32 vcc, 0, v[3:4]
	v_cmp_eq_u32_e64 s[40:41], 0, v82
	s_and_b64 s[42:43], vcc, s[40:41]
	; wave barrier
	s_and_saveexec_b64 s[40:41], s[42:43]
	s_cbranch_execz .LBB25_73
; %bb.72:
	v_bcnt_u32_b32 v3, v3, 0
	v_bcnt_u32_b32 v3, v4, v3
	s_waitcnt lgkmcnt(0)
	v_add_u32_e32 v3, v80, v3
	ds_write_b32 v81, v3 offset:16
.LBB25_73:
	s_or_b64 exec, exec, s[40:41]
	; wave barrier
	s_waitcnt lgkmcnt(0)
	s_barrier
	ds_read2_b32 v[5:6], v29 offset0:4 offset1:5
	ds_read2_b32 v[3:4], v29 offset0:6 offset1:7
	ds_read_b32 v83, v29 offset:32
	v_min_u32_e32 v20, 0xc0, v20
	v_or_b32_e32 v20, 63, v20
	s_waitcnt lgkmcnt(1)
	v_add3_u32 v84, v6, v5, v3
	s_waitcnt lgkmcnt(0)
	v_add3_u32 v83, v84, v4, v83
	v_and_b32_e32 v84, 15, v11
	v_cmp_ne_u32_e32 vcc, 0, v84
	v_mov_b32_dpp v85, v83 row_shr:1 row_mask:0xf bank_mask:0xf
	v_cndmask_b32_e32 v85, 0, v85, vcc
	v_add_u32_e32 v83, v85, v83
	v_cmp_lt_u32_e32 vcc, 1, v84
	s_nop 0
	v_mov_b32_dpp v85, v83 row_shr:2 row_mask:0xf bank_mask:0xf
	v_cndmask_b32_e32 v85, 0, v85, vcc
	v_add_u32_e32 v83, v83, v85
	v_cmp_lt_u32_e32 vcc, 3, v84
	s_nop 0
	;; [unrolled: 5-line block ×3, first 2 shown]
	v_mov_b32_dpp v85, v83 row_shr:8 row_mask:0xf bank_mask:0xf
	v_cndmask_b32_e32 v84, 0, v85, vcc
	v_add_u32_e32 v83, v83, v84
	v_bfe_i32 v85, v11, 4, 1
	v_cmp_lt_u32_e32 vcc, 31, v11
	v_mov_b32_dpp v84, v83 row_bcast:15 row_mask:0xf bank_mask:0xf
	v_and_b32_e32 v84, v85, v84
	v_add_u32_e32 v83, v83, v84
	s_nop 1
	v_mov_b32_dpp v84, v83 row_bcast:31 row_mask:0xf bank_mask:0xf
	v_cndmask_b32_e32 v84, 0, v84, vcc
	v_add_u32_e32 v83, v83, v84
	v_lshrrev_b32_e32 v84, 6, v0
	v_cmp_eq_u32_e32 vcc, v0, v20
	s_and_saveexec_b64 s[40:41], vcc
; %bb.74:
	v_lshlrev_b32_e32 v20, 2, v84
	ds_write_b32 v20, v83
; %bb.75:
	s_or_b64 exec, exec, s[40:41]
	v_cmp_gt_u32_e32 vcc, 4, v0
	s_waitcnt lgkmcnt(0)
	s_barrier
	s_and_saveexec_b64 s[40:41], vcc
	s_cbranch_execz .LBB25_77
; %bb.76:
	v_lshlrev_b32_e32 v20, 2, v0
	ds_read_b32 v85, v20
	v_and_b32_e32 v86, 3, v11
	v_cmp_ne_u32_e32 vcc, 0, v86
	s_waitcnt lgkmcnt(0)
	v_mov_b32_dpp v87, v85 row_shr:1 row_mask:0xf bank_mask:0xf
	v_cndmask_b32_e32 v87, 0, v87, vcc
	v_add_u32_e32 v85, v87, v85
	v_cmp_lt_u32_e32 vcc, 1, v86
	s_nop 0
	v_mov_b32_dpp v87, v85 row_shr:2 row_mask:0xf bank_mask:0xf
	v_cndmask_b32_e32 v86, 0, v87, vcc
	v_add_u32_e32 v85, v85, v86
	ds_write_b32 v20, v85
.LBB25_77:
	s_or_b64 exec, exec, s[40:41]
	v_cmp_lt_u32_e32 vcc, 63, v0
	v_mov_b32_e32 v20, 0
	s_waitcnt lgkmcnt(0)
	s_barrier
	s_and_saveexec_b64 s[40:41], vcc
; %bb.78:
	v_lshl_add_u32 v20, v84, 2, -4
	ds_read_b32 v20, v20
; %bb.79:
	s_or_b64 exec, exec, s[40:41]
	v_add_u32_e32 v84, -1, v11
	v_and_b32_e32 v85, 64, v11
	v_cmp_lt_i32_e32 vcc, v84, v85
	v_cndmask_b32_e32 v84, v84, v11, vcc
	s_waitcnt lgkmcnt(0)
	v_add_u32_e32 v83, v20, v83
	v_lshlrev_b32_e32 v84, 2, v84
	ds_bpermute_b32 v83, v84, v83
	v_cmp_eq_u32_e32 vcc, 0, v11
	s_movk_i32 s40, 0x100
	s_waitcnt lgkmcnt(0)
	v_cndmask_b32_e32 v20, v83, v20, vcc
	v_cmp_ne_u32_e32 vcc, 0, v0
	v_cndmask_b32_e32 v20, 0, v20, vcc
	v_add_u32_e32 v5, v20, v5
	v_add_u32_e32 v6, v5, v6
	;; [unrolled: 1-line block ×4, first 2 shown]
	ds_write2_b32 v29, v20, v5 offset0:4 offset1:5
	ds_write2_b32 v29, v6, v3 offset0:6 offset1:7
	ds_write_b32 v29, v4 offset:32
	s_waitcnt lgkmcnt(0)
	s_barrier
	ds_read_b32 v4, v51 offset:16
	ds_read_b32 v5, v54 offset:16
	;; [unrolled: 1-line block ×19, first 2 shown]
	v_add_u32_e32 v29, 1, v0
	v_cmp_ne_u32_e32 vcc, s40, v29
	v_mov_b32_e32 v3, 0x1200
	s_and_saveexec_b64 s[40:41], vcc
; %bb.80:
	v_mul_u32_u24_e32 v3, 20, v29
	ds_read_b32 v3, v3 offset:16
; %bb.81:
	s_or_b64 exec, exec, s[40:41]
	s_waitcnt lgkmcnt(7)
	v_add_u32_e32 v54, v31, v30
	s_waitcnt lgkmcnt(6)
	v_add3_u32 v51, v34, v32, v33
	s_waitcnt lgkmcnt(4)
	v_add3_u32 v45, v40, v38, v39
	v_add3_u32 v39, v52, v50, v4
	v_lshlrev_b32_e32 v4, 2, v54
	v_add3_u32 v48, v37, v35, v36
	s_waitcnt lgkmcnt(0)
	s_barrier
	ds_write_b32 v4, v8 offset:2048
	v_lshlrev_b32_e32 v4, 2, v51
	ds_write_b32 v4, v7 offset:2048
	v_lshlrev_b32_e32 v4, 2, v48
	v_add3_u32 v42, v43, v41, v42
	ds_write_b32 v4, v13 offset:2048
	v_lshlrev_b32_e32 v4, 2, v45
	v_add3_u32 v41, v46, v44, v81
	;; [unrolled: 3-line block ×3, first 2 shown]
	ds_write_b32 v4, v15 offset:2048
	v_lshlrev_b32_e32 v4, 2, v41
	ds_write_b32 v4, v14 offset:2048
	v_lshlrev_b32_e32 v4, 2, v40
	v_add3_u32 v38, v55, v53, v5
	ds_write_b32 v4, v17 offset:2048
	v_lshlrev_b32_e32 v4, 2, v39
	v_add3_u32 v37, v58, v56, v6
	;; [unrolled: 3-line block ×10, first 2 shown]
	ds_write_b32 v4, v25 offset:2048
	v_lshlrev_b32_e32 v4, 2, v30
	ds_write_b32 v4, v28 offset:2048
	v_lshlrev_b32_e32 v4, 2, v29
	ds_write_b32 v4, v27 offset:2048
	v_sub_u32_e32 v12, v3, v20
	v_lshl_or_b32 v3, s6, 8, v0
	v_mov_b32_e32 v4, 0
	v_lshlrev_b64 v[5:6], 2, v[3:4]
	v_mov_b32_e32 v13, s89
	v_add_co_u32_e32 v5, vcc, s88, v5
	v_addc_co_u32_e32 v6, vcc, v13, v6, vcc
	v_or_b32_e32 v3, 2.0, v12
	s_mov_b64 s[40:41], 0
	s_brev_b32 s46, -4
	s_mov_b32 s47, s7
	v_mov_b32_e32 v14, 0
	s_waitcnt lgkmcnt(0)
	s_barrier
	global_store_dword v[5:6], v3, off
                                        ; implicit-def: $sgpr42_sgpr43
	s_branch .LBB25_84
.LBB25_82:                              ;   in Loop: Header=BB25_84 Depth=1
	s_or_b64 exec, exec, s[44:45]
.LBB25_83:                              ;   in Loop: Header=BB25_84 Depth=1
	s_or_b64 exec, exec, s[42:43]
	v_and_b32_e32 v7, 0x3fffffff, v3
	v_add_u32_e32 v14, v7, v14
	v_cmp_gt_i32_e64 s[42:43], -2.0, v3
	s_and_b64 s[44:45], exec, s[42:43]
	s_or_b64 s[40:41], s[44:45], s[40:41]
	s_andn2_b64 exec, exec, s[40:41]
	s_cbranch_execz .LBB25_89
.LBB25_84:                              ; =>This Loop Header: Depth=1
                                        ;     Child Loop BB25_87 Depth 2
	s_or_b64 s[42:43], s[42:43], exec
	s_cmp_eq_u32 s47, 0
	s_cbranch_scc1 .LBB25_88
; %bb.85:                               ;   in Loop: Header=BB25_84 Depth=1
	s_add_i32 s47, s47, -1
	v_lshl_or_b32 v3, s47, 8, v0
	v_lshlrev_b64 v[7:8], 2, v[3:4]
	v_add_co_u32_e32 v7, vcc, s88, v7
	v_addc_co_u32_e32 v8, vcc, v13, v8, vcc
	global_load_dword v3, v[7:8], off glc
	s_waitcnt vmcnt(0)
	v_cmp_gt_u32_e32 vcc, 2.0, v3
	s_and_saveexec_b64 s[42:43], vcc
	s_cbranch_execz .LBB25_83
; %bb.86:                               ;   in Loop: Header=BB25_84 Depth=1
	s_mov_b64 s[44:45], 0
.LBB25_87:                              ;   Parent Loop BB25_84 Depth=1
                                        ; =>  This Inner Loop Header: Depth=2
	global_load_dword v3, v[7:8], off glc
	s_waitcnt vmcnt(0)
	v_cmp_lt_u32_e32 vcc, s46, v3
	s_or_b64 s[44:45], vcc, s[44:45]
	s_andn2_b64 exec, exec, s[44:45]
	s_cbranch_execnz .LBB25_87
	s_branch .LBB25_82
.LBB25_88:                              ;   in Loop: Header=BB25_84 Depth=1
                                        ; implicit-def: $sgpr47
	s_and_b64 s[44:45], exec, s[42:43]
	s_or_b64 s[40:41], s[44:45], s[40:41]
	s_andn2_b64 exec, exec, s[40:41]
	s_cbranch_execnz .LBB25_84
.LBB25_89:
	s_or_b64 exec, exec, s[40:41]
	s_load_dwordx4 s[40:43], s[4:5], 0x28
	v_add_u32_e32 v3, v14, v12
	v_or_b32_e32 v3, 0x80000000, v3
	v_lshlrev_b32_e32 v7, 3, v0
	global_store_dword v[5:6], v3, off
	s_waitcnt lgkmcnt(0)
	global_load_dwordx2 v[3:4], v7, s[40:41]
	v_sub_co_u32_e32 v5, vcc, v14, v20
	v_subb_co_u32_e64 v6, s[40:41], 0, 0, vcc
	s_waitcnt vmcnt(0)
	v_add_co_u32_e32 v3, vcc, v5, v3
	v_addc_co_u32_e32 v4, vcc, v6, v4, vcc
	v_cmp_gt_u32_e32 vcc, s90, v0
	ds_write_b64 v7, v[3:4]
	s_waitcnt lgkmcnt(0)
	s_barrier
	s_and_saveexec_b64 s[42:43], vcc
	s_cbranch_execz .LBB25_91
; %bb.90:
	v_lshlrev_b32_e32 v5, 2, v0
	v_sub_u32_e32 v3, v7, v5
	ds_read_b32 v6, v3 offset:2048
	v_mov_b32_e32 v8, s83
	s_waitcnt lgkmcnt(0)
	v_lshrrev_b32_e32 v3, s92, v6
	v_and_b32_e32 v3, s94, v3
	v_lshlrev_b32_e32 v3, 3, v3
	ds_read_b64 v[3:4], v3
	v_xor_b32_e32 v6, 0x80000000, v6
	s_waitcnt lgkmcnt(0)
	v_lshlrev_b64 v[3:4], 2, v[3:4]
	v_add_co_u32_e64 v3, s[40:41], s82, v3
	v_addc_co_u32_e64 v4, s[40:41], v8, v4, s[40:41]
	v_add_co_u32_e64 v3, s[40:41], v3, v5
	v_addc_co_u32_e64 v4, s[40:41], 0, v4, s[40:41]
	global_store_dword v[3:4], v6, off
.LBB25_91:
	s_or_b64 exec, exec, s[42:43]
	v_or_b32_e32 v3, 0x100, v0
	v_cmp_gt_u32_e64 s[40:41], s90, v3
	s_and_saveexec_b64 s[44:45], s[40:41]
	s_cbranch_execz .LBB25_93
; %bb.92:
	v_lshlrev_b32_e32 v5, 2, v0
	v_sub_u32_e32 v3, v7, v5
	ds_read_b32 v6, v3 offset:3072
	v_mov_b32_e32 v8, s83
	s_waitcnt lgkmcnt(0)
	v_lshrrev_b32_e32 v3, s92, v6
	v_and_b32_e32 v3, s94, v3
	v_lshlrev_b32_e32 v3, 3, v3
	ds_read_b64 v[3:4], v3
	v_xor_b32_e32 v6, 0x80000000, v6
	s_waitcnt lgkmcnt(0)
	v_lshlrev_b64 v[3:4], 2, v[3:4]
	v_add_co_u32_e64 v3, s[42:43], s82, v3
	v_addc_co_u32_e64 v4, s[42:43], v8, v4, s[42:43]
	v_add_co_u32_e64 v3, s[42:43], v3, v5
	v_addc_co_u32_e64 v4, s[42:43], 0, v4, s[42:43]
	global_store_dword v[3:4], v6, off offset:1024
.LBB25_93:
	s_or_b64 exec, exec, s[44:45]
	v_or_b32_e32 v3, 0x200, v0
	v_cmp_gt_u32_e64 s[42:43], s90, v3
	s_and_saveexec_b64 s[46:47], s[42:43]
	s_cbranch_execz .LBB25_95
; %bb.94:
	v_lshlrev_b32_e32 v5, 2, v0
	v_sub_u32_e32 v3, v7, v5
	ds_read_b32 v6, v3 offset:4096
	v_mov_b32_e32 v8, s83
	s_waitcnt lgkmcnt(0)
	v_lshrrev_b32_e32 v3, s92, v6
	v_and_b32_e32 v3, s94, v3
	v_lshlrev_b32_e32 v3, 3, v3
	ds_read_b64 v[3:4], v3
	v_xor_b32_e32 v6, 0x80000000, v6
	s_waitcnt lgkmcnt(0)
	v_lshlrev_b64 v[3:4], 2, v[3:4]
	v_add_co_u32_e64 v3, s[44:45], s82, v3
	v_addc_co_u32_e64 v4, s[44:45], v8, v4, s[44:45]
	v_add_co_u32_e64 v3, s[44:45], v3, v5
	v_addc_co_u32_e64 v4, s[44:45], 0, v4, s[44:45]
	global_store_dword v[3:4], v6, off offset:2048
.LBB25_95:
	;; [unrolled: 24-line block ×3, first 2 shown]
	s_or_b64 exec, exec, s[48:49]
	v_or_b32_e32 v3, 0x400, v0
	v_cmp_gt_u32_e64 s[46:47], s90, v3
	s_and_saveexec_b64 s[50:51], s[46:47]
	s_cbranch_execz .LBB25_99
; %bb.98:
	v_lshlrev_b32_e32 v4, 2, v0
	v_sub_u32_e32 v4, v7, v4
	ds_read_b32 v6, v4 offset:6144
	v_lshlrev_b32_e32 v13, 2, v3
	v_mov_b32_e32 v8, s83
	s_waitcnt lgkmcnt(0)
	v_lshrrev_b32_e32 v4, s92, v6
	v_and_b32_e32 v4, s94, v4
	v_lshlrev_b32_e32 v4, 3, v4
	ds_read_b64 v[4:5], v4
	v_xor_b32_e32 v6, 0x80000000, v6
	s_waitcnt lgkmcnt(0)
	v_lshlrev_b64 v[3:4], 2, v[4:5]
	v_add_co_u32_e64 v3, s[48:49], s82, v3
	v_addc_co_u32_e64 v4, s[48:49], v8, v4, s[48:49]
	v_add_co_u32_e64 v3, s[48:49], v3, v13
	v_addc_co_u32_e64 v4, s[48:49], 0, v4, s[48:49]
	global_store_dword v[3:4], v6, off
.LBB25_99:
	s_or_b64 exec, exec, s[50:51]
	v_or_b32_e32 v3, 0x500, v0
	v_cmp_gt_u32_e64 s[48:49], s90, v3
	s_and_saveexec_b64 s[52:53], s[48:49]
	s_cbranch_execz .LBB25_101
; %bb.100:
	v_lshlrev_b32_e32 v4, 2, v0
	v_sub_u32_e32 v4, v7, v4
	ds_read_b32 v6, v4 offset:7168
	v_lshlrev_b32_e32 v13, 2, v3
	v_mov_b32_e32 v8, s83
	s_waitcnt lgkmcnt(0)
	v_lshrrev_b32_e32 v4, s92, v6
	v_and_b32_e32 v4, s94, v4
	v_lshlrev_b32_e32 v4, 3, v4
	ds_read_b64 v[4:5], v4
	v_xor_b32_e32 v6, 0x80000000, v6
	s_waitcnt lgkmcnt(0)
	v_lshlrev_b64 v[3:4], 2, v[4:5]
	v_add_co_u32_e64 v3, s[50:51], s82, v3
	v_addc_co_u32_e64 v4, s[50:51], v8, v4, s[50:51]
	v_add_co_u32_e64 v3, s[50:51], v3, v13
	v_addc_co_u32_e64 v4, s[50:51], 0, v4, s[50:51]
	global_store_dword v[3:4], v6, off
.LBB25_101:
	;; [unrolled: 25-line block ×3, first 2 shown]
	s_or_b64 exec, exec, s[54:55]
	v_or_b32_e32 v3, 0x700, v0
	v_cmp_gt_u32_e64 s[52:53], s90, v3
	s_and_saveexec_b64 s[56:57], s[52:53]
	s_cbranch_execz .LBB25_105
; %bb.104:
	v_lshlrev_b32_e32 v4, 2, v0
	ds_read_b32 v6, v4 offset:9216
	v_lshlrev_b32_e32 v13, 2, v3
	v_mov_b32_e32 v8, s83
	s_waitcnt lgkmcnt(0)
	v_lshrrev_b32_e32 v4, s92, v6
	v_and_b32_e32 v4, s94, v4
	v_lshlrev_b32_e32 v4, 3, v4
	ds_read_b64 v[4:5], v4
	v_xor_b32_e32 v6, 0x80000000, v6
	s_waitcnt lgkmcnt(0)
	v_lshlrev_b64 v[3:4], 2, v[4:5]
	v_add_co_u32_e64 v3, s[54:55], s82, v3
	v_addc_co_u32_e64 v4, s[54:55], v8, v4, s[54:55]
	v_add_co_u32_e64 v3, s[54:55], v3, v13
	v_addc_co_u32_e64 v4, s[54:55], 0, v4, s[54:55]
	global_store_dword v[3:4], v6, off
.LBB25_105:
	s_or_b64 exec, exec, s[56:57]
	v_or_b32_e32 v5, 0x800, v0
	v_cmp_gt_u32_e64 s[54:55], s90, v5
	s_and_saveexec_b64 s[58:59], s[54:55]
	s_cbranch_execz .LBB25_107
; %bb.106:
	v_lshlrev_b32_e32 v3, 2, v0
	ds_read_b32 v6, v3 offset:10240
	v_mov_b32_e32 v8, s83
	v_lshlrev_b32_e32 v13, 2, v5
	s_waitcnt lgkmcnt(0)
	v_lshrrev_b32_e32 v3, s92, v6
	v_and_b32_e32 v3, s94, v3
	v_lshlrev_b32_e32 v3, 3, v3
	ds_read_b64 v[3:4], v3
	v_xor_b32_e32 v6, 0x80000000, v6
	s_waitcnt lgkmcnt(0)
	v_lshlrev_b64 v[3:4], 2, v[3:4]
	v_add_co_u32_e64 v3, s[56:57], s82, v3
	v_addc_co_u32_e64 v4, s[56:57], v8, v4, s[56:57]
	v_add_co_u32_e64 v3, s[56:57], v3, v13
	v_addc_co_u32_e64 v4, s[56:57], 0, v4, s[56:57]
	global_store_dword v[3:4], v6, off
.LBB25_107:
	s_or_b64 exec, exec, s[58:59]
	v_or_b32_e32 v6, 0x900, v0
	v_cmp_gt_u32_e64 s[56:57], s90, v6
	s_and_saveexec_b64 s[60:61], s[56:57]
	s_cbranch_execz .LBB25_109
; %bb.108:
	v_lshlrev_b32_e32 v3, 2, v0
	ds_read_b32 v8, v3 offset:11264
	v_mov_b32_e32 v13, s83
	v_lshlrev_b32_e32 v14, 2, v6
	s_waitcnt lgkmcnt(0)
	v_lshrrev_b32_e32 v3, s92, v8
	v_and_b32_e32 v3, s94, v3
	v_lshlrev_b32_e32 v3, 3, v3
	ds_read_b64 v[3:4], v3
	v_xor_b32_e32 v8, 0x80000000, v8
	s_waitcnt lgkmcnt(0)
	v_lshlrev_b64 v[3:4], 2, v[3:4]
	v_add_co_u32_e64 v3, s[58:59], s82, v3
	v_addc_co_u32_e64 v4, s[58:59], v13, v4, s[58:59]
	v_add_co_u32_e64 v3, s[58:59], v3, v14
	v_addc_co_u32_e64 v4, s[58:59], 0, v4, s[58:59]
	global_store_dword v[3:4], v8, off
.LBB25_109:
	;; [unrolled: 24-line block ×10, first 2 shown]
	s_or_b64 exec, exec, s[90:91]
	s_lshl_b64 s[76:77], s[78:79], 1
	s_add_u32 s76, s84, s76
	s_addc_u32 s77, s85, s77
	v_lshlrev_b32_e32 v3, 1, v11
	v_mov_b32_e32 v4, s77
	v_add_co_u32_e64 v3, s[76:77], s76, v3
	v_addc_co_u32_e64 v4, s[76:77], 0, v4, s[76:77]
	v_lshlrev_b32_e32 v10, 1, v10
	v_add_co_u32_e64 v3, s[76:77], v3, v10
	v_addc_co_u32_e64 v4, s[76:77], 0, v4, s[76:77]
                                        ; implicit-def: $vgpr10
	s_and_saveexec_b64 s[76:77], s[0:1]
	s_xor_b64 s[0:1], exec, s[76:77]
	s_cbranch_execz .LBB25_143
; %bb.126:
	global_load_ushort v10, v[3:4], off
	s_or_b64 exec, exec, s[0:1]
                                        ; implicit-def: $vgpr11
	s_and_saveexec_b64 s[0:1], s[2:3]
	s_cbranch_execnz .LBB25_144
.LBB25_127:
	s_or_b64 exec, exec, s[0:1]
                                        ; implicit-def: $vgpr22
	s_and_saveexec_b64 s[0:1], s[74:75]
	s_cbranch_execz .LBB25_145
.LBB25_128:
	global_load_ushort v22, v[3:4], off offset:256
	s_or_b64 exec, exec, s[0:1]
                                        ; implicit-def: $vgpr24
	s_and_saveexec_b64 s[0:1], s[8:9]
	s_cbranch_execnz .LBB25_146
.LBB25_129:
	s_or_b64 exec, exec, s[0:1]
                                        ; implicit-def: $vgpr26
	s_and_saveexec_b64 s[0:1], s[10:11]
	s_cbranch_execz .LBB25_147
.LBB25_130:
	global_load_ushort v26, v[3:4], off offset:512
	s_or_b64 exec, exec, s[0:1]
                                        ; implicit-def: $vgpr27
	s_and_saveexec_b64 s[0:1], s[12:13]
	s_cbranch_execnz .LBB25_148
.LBB25_131:
	s_or_b64 exec, exec, s[0:1]
                                        ; implicit-def: $vgpr44
	s_and_saveexec_b64 s[0:1], s[14:15]
	s_cbranch_execz .LBB25_149
.LBB25_132:
	global_load_ushort v44, v[3:4], off offset:768
	s_or_b64 exec, exec, s[0:1]
                                        ; implicit-def: $vgpr46
	s_and_saveexec_b64 s[0:1], s[16:17]
	s_cbranch_execnz .LBB25_150
.LBB25_133:
	s_or_b64 exec, exec, s[0:1]
                                        ; implicit-def: $vgpr50
	s_and_saveexec_b64 s[0:1], s[18:19]
	s_cbranch_execz .LBB25_151
.LBB25_134:
	global_load_ushort v50, v[3:4], off offset:1024
	s_or_b64 exec, exec, s[0:1]
                                        ; implicit-def: $vgpr52
	s_and_saveexec_b64 s[0:1], s[20:21]
	s_cbranch_execnz .LBB25_152
.LBB25_135:
	s_or_b64 exec, exec, s[0:1]
                                        ; implicit-def: $vgpr56
	s_and_saveexec_b64 s[0:1], s[22:23]
	s_cbranch_execz .LBB25_153
.LBB25_136:
	global_load_ushort v56, v[3:4], off offset:1280
	s_or_b64 exec, exec, s[0:1]
                                        ; implicit-def: $vgpr57
	s_and_saveexec_b64 s[0:1], s[24:25]
	s_cbranch_execnz .LBB25_154
.LBB25_137:
	s_or_b64 exec, exec, s[0:1]
                                        ; implicit-def: $vgpr60
	s_and_saveexec_b64 s[0:1], s[26:27]
	s_cbranch_execz .LBB25_155
.LBB25_138:
	global_load_ushort v60, v[3:4], off offset:1536
	s_or_b64 exec, exec, s[0:1]
                                        ; implicit-def: $vgpr62
	s_and_saveexec_b64 s[0:1], s[28:29]
	s_cbranch_execnz .LBB25_156
.LBB25_139:
	s_or_b64 exec, exec, s[0:1]
                                        ; implicit-def: $vgpr64
	s_and_saveexec_b64 s[0:1], s[30:31]
	s_cbranch_execz .LBB25_157
.LBB25_140:
	global_load_ushort v64, v[3:4], off offset:1792
	s_or_b64 exec, exec, s[0:1]
                                        ; implicit-def: $vgpr66
	s_and_saveexec_b64 s[0:1], s[34:35]
	s_cbranch_execnz .LBB25_158
.LBB25_141:
	s_or_b64 exec, exec, s[0:1]
                                        ; implicit-def: $vgpr68
	s_and_saveexec_b64 s[0:1], s[36:37]
	s_cbranch_execz .LBB25_159
.LBB25_142:
	global_load_ushort v68, v[3:4], off offset:2048
	s_or_b64 exec, exec, s[0:1]
                                        ; implicit-def: $vgpr69
	s_and_saveexec_b64 s[0:1], s[38:39]
	s_cbranch_execnz .LBB25_160
	s_branch .LBB25_161
.LBB25_143:
	s_or_b64 exec, exec, s[0:1]
                                        ; implicit-def: $vgpr11
	s_and_saveexec_b64 s[0:1], s[2:3]
	s_cbranch_execz .LBB25_127
.LBB25_144:
	global_load_ushort v11, v[3:4], off offset:128
	s_or_b64 exec, exec, s[0:1]
                                        ; implicit-def: $vgpr22
	s_and_saveexec_b64 s[0:1], s[74:75]
	s_cbranch_execnz .LBB25_128
.LBB25_145:
	s_or_b64 exec, exec, s[0:1]
                                        ; implicit-def: $vgpr24
	s_and_saveexec_b64 s[0:1], s[8:9]
	s_cbranch_execz .LBB25_129
.LBB25_146:
	global_load_ushort v24, v[3:4], off offset:384
	s_or_b64 exec, exec, s[0:1]
                                        ; implicit-def: $vgpr26
	s_and_saveexec_b64 s[0:1], s[10:11]
	s_cbranch_execnz .LBB25_130
.LBB25_147:
	s_or_b64 exec, exec, s[0:1]
                                        ; implicit-def: $vgpr27
	s_and_saveexec_b64 s[0:1], s[12:13]
	s_cbranch_execz .LBB25_131
.LBB25_148:
	global_load_ushort v27, v[3:4], off offset:640
	s_or_b64 exec, exec, s[0:1]
                                        ; implicit-def: $vgpr44
	s_and_saveexec_b64 s[0:1], s[14:15]
	s_cbranch_execnz .LBB25_132
.LBB25_149:
	s_or_b64 exec, exec, s[0:1]
                                        ; implicit-def: $vgpr46
	s_and_saveexec_b64 s[0:1], s[16:17]
	s_cbranch_execz .LBB25_133
.LBB25_150:
	global_load_ushort v46, v[3:4], off offset:896
	s_or_b64 exec, exec, s[0:1]
                                        ; implicit-def: $vgpr50
	s_and_saveexec_b64 s[0:1], s[18:19]
	s_cbranch_execnz .LBB25_134
.LBB25_151:
	s_or_b64 exec, exec, s[0:1]
                                        ; implicit-def: $vgpr52
	s_and_saveexec_b64 s[0:1], s[20:21]
	s_cbranch_execz .LBB25_135
.LBB25_152:
	global_load_ushort v52, v[3:4], off offset:1152
	s_or_b64 exec, exec, s[0:1]
                                        ; implicit-def: $vgpr56
	s_and_saveexec_b64 s[0:1], s[22:23]
	s_cbranch_execnz .LBB25_136
.LBB25_153:
	s_or_b64 exec, exec, s[0:1]
                                        ; implicit-def: $vgpr57
	s_and_saveexec_b64 s[0:1], s[24:25]
	s_cbranch_execz .LBB25_137
.LBB25_154:
	global_load_ushort v57, v[3:4], off offset:1408
	s_or_b64 exec, exec, s[0:1]
                                        ; implicit-def: $vgpr60
	s_and_saveexec_b64 s[0:1], s[26:27]
	s_cbranch_execnz .LBB25_138
.LBB25_155:
	s_or_b64 exec, exec, s[0:1]
                                        ; implicit-def: $vgpr62
	s_and_saveexec_b64 s[0:1], s[28:29]
	s_cbranch_execz .LBB25_139
.LBB25_156:
	global_load_ushort v62, v[3:4], off offset:1664
	s_or_b64 exec, exec, s[0:1]
                                        ; implicit-def: $vgpr64
	s_and_saveexec_b64 s[0:1], s[30:31]
	s_cbranch_execnz .LBB25_140
.LBB25_157:
	s_or_b64 exec, exec, s[0:1]
                                        ; implicit-def: $vgpr66
	s_and_saveexec_b64 s[0:1], s[34:35]
	s_cbranch_execz .LBB25_141
.LBB25_158:
	global_load_ushort v66, v[3:4], off offset:1920
	s_or_b64 exec, exec, s[0:1]
                                        ; implicit-def: $vgpr68
	s_and_saveexec_b64 s[0:1], s[36:37]
	s_cbranch_execnz .LBB25_142
.LBB25_159:
	s_or_b64 exec, exec, s[0:1]
                                        ; implicit-def: $vgpr69
	s_and_saveexec_b64 s[0:1], s[38:39]
	s_cbranch_execz .LBB25_161
.LBB25_160:
	global_load_ushort v69, v[3:4], off offset:2176
.LBB25_161:
	s_or_b64 exec, exec, s[0:1]
	v_mov_b32_e32 v65, 0
	v_mov_b32_e32 v70, 0
	s_and_saveexec_b64 s[0:1], vcc
	s_cbranch_execz .LBB25_163
; %bb.162:
	v_lshlrev_b32_e32 v3, 2, v0
	ds_read_b32 v3, v3 offset:2048
	s_waitcnt lgkmcnt(0)
	v_lshrrev_b32_e32 v3, s92, v3
	v_and_b32_e32 v70, s94, v3
.LBB25_163:
	s_or_b64 exec, exec, s[0:1]
	s_and_saveexec_b64 s[0:1], s[40:41]
	s_cbranch_execz .LBB25_165
; %bb.164:
	v_lshlrev_b32_e32 v3, 2, v0
	ds_read_b32 v3, v3 offset:3072
	s_waitcnt lgkmcnt(0)
	v_lshrrev_b32_e32 v3, s92, v3
	v_and_b32_e32 v65, s94, v3
.LBB25_165:
	s_or_b64 exec, exec, s[0:1]
	v_mov_b32_e32 v61, 0
	v_mov_b32_e32 v67, 0
	s_and_saveexec_b64 s[0:1], s[42:43]
	s_cbranch_execz .LBB25_167
; %bb.166:
	v_lshlrev_b32_e32 v3, 2, v0
	ds_read_b32 v3, v3 offset:4096
	s_waitcnt lgkmcnt(0)
	v_lshrrev_b32_e32 v3, s92, v3
	v_and_b32_e32 v67, s94, v3
.LBB25_167:
	s_or_b64 exec, exec, s[0:1]
	s_and_saveexec_b64 s[0:1], s[44:45]
	s_cbranch_execz .LBB25_169
; %bb.168:
	v_lshlrev_b32_e32 v3, 2, v0
	ds_read_b32 v3, v3 offset:5120
	s_waitcnt lgkmcnt(0)
	v_lshrrev_b32_e32 v3, s92, v3
	v_and_b32_e32 v61, s94, v3
.LBB25_169:
	s_or_b64 exec, exec, s[0:1]
	v_mov_b32_e32 v58, 0
	v_mov_b32_e32 v63, 0
	s_and_saveexec_b64 s[0:1], s[46:47]
	;; [unrolled: 22-line block ×8, first 2 shown]
	s_cbranch_execz .LBB25_195
; %bb.194:
	v_lshlrev_b32_e32 v21, 2, v0
	ds_read_b32 v21, v21 offset:18432
	s_waitcnt lgkmcnt(0)
	v_lshrrev_b32_e32 v21, s92, v21
	v_and_b32_e32 v21, s94, v21
.LBB25_195:
	s_or_b64 exec, exec, s[0:1]
	s_and_saveexec_b64 s[0:1], s[72:73]
	s_cbranch_execz .LBB25_197
; %bb.196:
	v_lshlrev_b32_e32 v3, 2, v0
	ds_read_b32 v3, v3 offset:19456
	s_waitcnt lgkmcnt(0)
	v_lshrrev_b32_e32 v3, s92, v3
	v_and_b32_e32 v3, s94, v3
.LBB25_197:
	s_or_b64 exec, exec, s[0:1]
	v_lshlrev_b32_e32 v54, 1, v54
	s_waitcnt vmcnt(0)
	s_barrier
	ds_write_b16 v54, v10 offset:2048
	v_lshlrev_b32_e32 v10, 1, v51
	ds_write_b16 v10, v11 offset:2048
	v_lshlrev_b32_e32 v10, 1, v48
	;; [unrolled: 2-line block ×17, first 2 shown]
	ds_write_b16 v10, v69 offset:2048
	s_waitcnt lgkmcnt(0)
	s_barrier
	s_and_saveexec_b64 s[0:1], vcc
	s_cbranch_execz .LBB25_274
; %bb.198:
	v_lshlrev_b32_e32 v10, 3, v70
	ds_read_b64 v[10:11], v10
	v_lshlrev_b32_e32 v22, 1, v0
	ds_read_u16 v24, v22 offset:2048
	v_mov_b32_e32 v26, s87
	s_waitcnt lgkmcnt(1)
	v_lshlrev_b64 v[10:11], 1, v[10:11]
	v_add_co_u32_e32 v10, vcc, s86, v10
	v_addc_co_u32_e32 v11, vcc, v26, v11, vcc
	v_add_co_u32_e32 v10, vcc, v10, v22
	v_addc_co_u32_e32 v11, vcc, 0, v11, vcc
	s_waitcnt lgkmcnt(0)
	global_store_short v[10:11], v24, off
	s_or_b64 exec, exec, s[0:1]
	s_and_saveexec_b64 s[0:1], s[40:41]
	s_cbranch_execnz .LBB25_275
.LBB25_199:
	s_or_b64 exec, exec, s[0:1]
	s_and_saveexec_b64 s[0:1], s[42:43]
	s_cbranch_execz .LBB25_276
.LBB25_200:
	v_lshlrev_b32_e32 v10, 3, v67
	ds_read_b64 v[10:11], v10
	v_lshlrev_b32_e32 v22, 1, v0
	ds_read_u16 v24, v22 offset:3072
	v_mov_b32_e32 v26, s87
	s_waitcnt lgkmcnt(1)
	v_lshlrev_b64 v[10:11], 1, v[10:11]
	v_add_co_u32_e32 v10, vcc, s86, v10
	v_addc_co_u32_e32 v11, vcc, v26, v11, vcc
	v_add_co_u32_e32 v10, vcc, v10, v22
	v_addc_co_u32_e32 v11, vcc, 0, v11, vcc
	s_waitcnt lgkmcnt(0)
	global_store_short v[10:11], v24, off offset:1024
	s_or_b64 exec, exec, s[0:1]
	s_and_saveexec_b64 s[0:1], s[44:45]
	s_cbranch_execnz .LBB25_277
.LBB25_201:
	s_or_b64 exec, exec, s[0:1]
	s_and_saveexec_b64 s[0:1], s[46:47]
	s_cbranch_execz .LBB25_278
.LBB25_202:
	v_lshlrev_b32_e32 v10, 3, v63
	ds_read_b64 v[10:11], v10
	v_lshlrev_b32_e32 v22, 1, v0
	ds_read_u16 v24, v22 offset:4096
	v_mov_b32_e32 v26, s87
	s_waitcnt lgkmcnt(1)
	v_lshlrev_b64 v[10:11], 1, v[10:11]
	v_add_co_u32_e32 v10, vcc, s86, v10
	v_addc_co_u32_e32 v11, vcc, v26, v11, vcc
	v_add_co_u32_e32 v10, vcc, v10, v22
	v_addc_co_u32_e32 v11, vcc, 0, v11, vcc
	s_waitcnt lgkmcnt(0)
	global_store_short v[10:11], v24, off offset:2048
	s_or_b64 exec, exec, s[0:1]
	s_and_saveexec_b64 s[0:1], s[48:49]
	s_cbranch_execnz .LBB25_279
.LBB25_203:
	s_or_b64 exec, exec, s[0:1]
	s_and_saveexec_b64 s[0:1], s[50:51]
	s_cbranch_execz .LBB25_280
.LBB25_204:
	v_lshlrev_b32_e32 v10, 3, v59
	ds_read_b64 v[10:11], v10
	v_lshlrev_b32_e32 v22, 1, v0
	ds_read_u16 v24, v22 offset:5120
	v_mov_b32_e32 v26, s87
	s_waitcnt lgkmcnt(1)
	v_lshlrev_b64 v[10:11], 1, v[10:11]
	v_add_co_u32_e32 v10, vcc, s86, v10
	v_addc_co_u32_e32 v11, vcc, v26, v11, vcc
	v_add_co_u32_e32 v10, vcc, v10, v22
	v_addc_co_u32_e32 v11, vcc, 0, v11, vcc
	s_waitcnt lgkmcnt(0)
	global_store_short v[10:11], v24, off offset:3072
	s_or_b64 exec, exec, s[0:1]
	s_and_saveexec_b64 s[0:1], s[52:53]
	s_cbranch_execnz .LBB25_281
.LBB25_205:
	s_or_b64 exec, exec, s[0:1]
	s_and_saveexec_b64 s[0:1], s[54:55]
	s_cbranch_execz .LBB25_282
.LBB25_206:
	v_lshlrev_b32_e32 v10, 3, v55
	ds_read_b64 v[10:11], v10
	v_lshlrev_b32_e32 v22, 1, v0
	ds_read_u16 v22, v22 offset:6144
	v_mov_b32_e32 v24, s87
	v_lshlrev_b32_e32 v5, 1, v5
	s_waitcnt lgkmcnt(1)
	v_lshlrev_b64 v[10:11], 1, v[10:11]
	v_add_co_u32_e32 v10, vcc, s86, v10
	v_addc_co_u32_e32 v11, vcc, v24, v11, vcc
	v_add_co_u32_e32 v10, vcc, v10, v5
	v_addc_co_u32_e32 v11, vcc, 0, v11, vcc
	s_waitcnt lgkmcnt(0)
	global_store_short v[10:11], v22, off
	s_or_b64 exec, exec, s[0:1]
	s_and_saveexec_b64 s[0:1], s[56:57]
	s_cbranch_execnz .LBB25_283
.LBB25_207:
	s_or_b64 exec, exec, s[0:1]
	s_and_saveexec_b64 s[0:1], s[58:59]
	s_cbranch_execz .LBB25_284
.LBB25_208:
	v_lshlrev_b32_e32 v5, 3, v49
	ds_read_b64 v[5:6], v5
	v_lshlrev_b32_e32 v10, 1, v0
	ds_read_u16 v10, v10 offset:7168
	v_mov_b32_e32 v11, s87
	v_lshlrev_b32_e32 v8, 1, v8
	s_waitcnt lgkmcnt(1)
	v_lshlrev_b64 v[5:6], 1, v[5:6]
	v_add_co_u32_e32 v5, vcc, s86, v5
	v_addc_co_u32_e32 v6, vcc, v11, v6, vcc
	v_add_co_u32_e32 v5, vcc, v5, v8
	v_addc_co_u32_e32 v6, vcc, 0, v6, vcc
	s_waitcnt lgkmcnt(0)
	global_store_short v[5:6], v10, off
	s_or_b64 exec, exec, s[0:1]
	s_and_saveexec_b64 s[0:1], s[60:61]
	s_cbranch_execnz .LBB25_285
.LBB25_209:
	s_or_b64 exec, exec, s[0:1]
	s_and_saveexec_b64 s[0:1], s[62:63]
	s_cbranch_execz .LBB25_286
.LBB25_210:
	v_lshlrev_b32_e32 v5, 3, v43
	ds_read_b64 v[5:6], v5
	v_lshlrev_b32_e32 v8, 1, v0
	ds_read_u16 v8, v8 offset:8192
	v_mov_b32_e32 v10, s87
	s_waitcnt lgkmcnt(1)
	v_lshlrev_b64 v[5:6], 1, v[5:6]
	v_add_co_u32_e32 v5, vcc, s86, v5
	v_addc_co_u32_e32 v6, vcc, v10, v6, vcc
	v_lshlrev_b32_e32 v10, 1, v14
	v_add_co_u32_e32 v5, vcc, v5, v10
	v_addc_co_u32_e32 v6, vcc, 0, v6, vcc
	s_waitcnt lgkmcnt(0)
	global_store_short v[5:6], v8, off
	s_or_b64 exec, exec, s[0:1]
	s_and_saveexec_b64 s[0:1], s[64:65]
	s_cbranch_execnz .LBB25_287
.LBB25_211:
	s_or_b64 exec, exec, s[0:1]
	s_and_saveexec_b64 s[0:1], s[66:67]
	s_cbranch_execz .LBB25_288
.LBB25_212:
	v_lshlrev_b32_e32 v5, 3, v25
	ds_read_b64 v[5:6], v5
	v_lshlrev_b32_e32 v8, 1, v0
	ds_read_u16 v8, v8 offset:9216
	v_mov_b32_e32 v10, s87
	s_waitcnt lgkmcnt(1)
	v_lshlrev_b64 v[5:6], 1, v[5:6]
	v_add_co_u32_e32 v5, vcc, s86, v5
	v_addc_co_u32_e32 v6, vcc, v10, v6, vcc
	v_lshlrev_b32_e32 v10, 1, v16
	v_add_co_u32_e32 v5, vcc, v5, v10
	v_addc_co_u32_e32 v6, vcc, 0, v6, vcc
	s_waitcnt lgkmcnt(0)
	global_store_short v[5:6], v8, off
	s_or_b64 exec, exec, s[0:1]
	s_and_saveexec_b64 s[0:1], s[68:69]
	s_cbranch_execnz .LBB25_289
.LBB25_213:
	s_or_b64 exec, exec, s[0:1]
	s_and_saveexec_b64 s[0:1], s[70:71]
	s_cbranch_execz .LBB25_290
.LBB25_214:
	v_lshlrev_b32_e32 v4, 3, v21
	ds_read_b64 v[4:5], v4
	v_lshlrev_b32_e32 v6, 1, v0
	ds_read_u16 v6, v6 offset:10240
	v_mov_b32_e32 v8, s87
	s_waitcnt lgkmcnt(1)
	v_lshlrev_b64 v[4:5], 1, v[4:5]
	v_add_co_u32_e32 v4, vcc, s86, v4
	v_addc_co_u32_e32 v5, vcc, v8, v5, vcc
	v_lshlrev_b32_e32 v8, 1, v18
	v_add_co_u32_e32 v4, vcc, v4, v8
	v_addc_co_u32_e32 v5, vcc, 0, v5, vcc
	s_waitcnt lgkmcnt(0)
	global_store_short v[4:5], v6, off
	s_or_b64 exec, exec, s[0:1]
	s_and_saveexec_b64 s[0:1], s[72:73]
	s_cbranch_execnz .LBB25_291
.LBB25_215:
	s_or_b64 exec, exec, s[0:1]
	s_add_i32 s33, s33, -1
	s_cmp_eq_u32 s6, s33
	s_cbranch_scc0 .LBB25_217
.LBB25_216:
	ds_read_b64 v[3:4], v7
	v_add_co_u32_e32 v5, vcc, v12, v20
	v_addc_co_u32_e64 v6, s[0:1], 0, 0, vcc
	s_load_dwordx4 s[0:3], s[4:5], 0x28
	s_waitcnt lgkmcnt(0)
	v_add_co_u32_e32 v3, vcc, v5, v3
	v_addc_co_u32_e32 v4, vcc, v6, v4, vcc
	global_store_dwordx2 v7, v[3:4], s[2:3]
.LBB25_217:
	s_mov_b64 s[0:1], 0
.LBB25_218:
	s_and_b64 vcc, exec, s[0:1]
	s_cbranch_vccz .LBB25_273
; %bb.219:
	s_mov_b32 s79, 0
	s_lshl_b64 s[0:1], s[78:79], 2
	v_mbcnt_hi_u32_b32 v8, -1, v9
	s_add_u32 s0, s80, s0
	v_lshlrev_b32_e32 v4, 2, v8
	v_add_co_u32_e32 v4, vcc, s0, v4
	s_load_dword s8, s[4:5], 0x50
	s_load_dword s0, s[4:5], 0x5c
	s_addc_u32 s1, s81, s1
	v_and_b32_e32 v9, 0xc0, v0
	v_mul_u32_u24_e32 v7, 18, v9
	v_mov_b32_e32 v5, s1
	v_addc_co_u32_e32 v5, vcc, 0, v5, vcc
	v_lshlrev_b32_e32 v6, 2, v7
	v_add_co_u32_e32 v4, vcc, v4, v6
	s_add_u32 s1, s4, 0x50
	v_addc_co_u32_e32 v5, vcc, 0, v5, vcc
	s_addc_u32 s2, s5, 0
	s_waitcnt lgkmcnt(0)
	s_lshr_b32 s3, s0, 16
	global_load_dword v10, v[4:5], off
	s_cmp_lt_u32 s6, s8
	s_cselect_b32 s0, 12, 18
	s_add_u32 s0, s1, s0
	v_mov_b32_e32 v3, 0
	s_addc_u32 s1, s2, 0
	global_load_ushort v12, v3, s[0:1]
	v_mul_u32_u24_e32 v6, 20, v0
	ds_write2_b32 v6, v3, v3 offset0:4 offset1:5
	ds_write2_b32 v6, v3, v3 offset0:6 offset1:7
	ds_write_b32 v6, v3 offset:32
	global_load_dword v11, v[4:5], off offset:256
	global_load_dword v15, v[4:5], off offset:512
	;; [unrolled: 1-line block ×15, first 2 shown]
	s_movk_i32 s0, 0x1000
	v_mad_u32_u24 v13, v2, s3, v1
	v_add_co_u32_e32 v1, vcc, s0, v4
	v_addc_co_u32_e32 v2, vcc, 0, v5, vcc
	global_load_dword v24, v[1:2], off
	global_load_dword v18, v[1:2], off offset:256
	s_lshl_b32 s0, -1, s93
	s_not_b32 s9, s0
	s_waitcnt vmcnt(0) lgkmcnt(0)
	s_barrier
	; wave barrier
	v_xor_b32_e32 v5, 0x80000000, v10
	v_lshrrev_b32_e32 v1, s92, v5
	v_and_b32_e32 v14, s9, v1
	v_and_b32_e32 v10, 1, v14
	v_lshlrev_b32_e32 v4, 30, v14
	v_mad_u64_u32 v[1:2], s[0:1], v13, v12, v[0:1]
	v_add_co_u32_e32 v12, vcc, -1, v10
	v_addc_co_u32_e64 v13, s[0:1], 0, -1, vcc
	v_mul_lo_u32 v2, v14, 20
	v_cmp_ne_u32_e32 vcc, 0, v10
	v_cmp_gt_i64_e64 s[0:1], 0, v[3:4]
	v_not_b32_e32 v10, v4
	v_lshlrev_b32_e32 v4, 29, v14
	v_xor_b32_e32 v13, vcc_hi, v13
	v_xor_b32_e32 v12, vcc_lo, v12
	v_ashrrev_i32_e32 v10, 31, v10
	v_cmp_gt_i64_e32 vcc, 0, v[3:4]
	v_not_b32_e32 v4, v4
	v_and_b32_e32 v13, exec_hi, v13
	v_and_b32_e32 v12, exec_lo, v12
	v_xor_b32_e32 v16, s1, v10
	v_xor_b32_e32 v10, s0, v10
	v_ashrrev_i32_e32 v4, 31, v4
	v_lshrrev_b32_e32 v20, 6, v1
	v_and_b32_e32 v1, v13, v16
	v_and_b32_e32 v12, v12, v10
	v_xor_b32_e32 v13, vcc_hi, v4
	v_xor_b32_e32 v4, vcc_lo, v4
	v_lshl_add_u32 v10, v20, 2, v2
	v_and_b32_e32 v2, v12, v4
	v_lshlrev_b32_e32 v4, 28, v14
	v_cmp_gt_i64_e32 vcc, 0, v[3:4]
	v_not_b32_e32 v4, v4
	v_ashrrev_i32_e32 v4, 31, v4
	v_xor_b32_e32 v12, vcc_hi, v4
	v_xor_b32_e32 v4, vcc_lo, v4
	v_and_b32_e32 v2, v2, v4
	v_lshlrev_b32_e32 v4, 27, v14
	v_cmp_gt_i64_e32 vcc, 0, v[3:4]
	v_not_b32_e32 v4, v4
	v_and_b32_e32 v1, v1, v13
	v_ashrrev_i32_e32 v4, 31, v4
	v_and_b32_e32 v1, v1, v12
	v_xor_b32_e32 v12, vcc_hi, v4
	v_xor_b32_e32 v4, vcc_lo, v4
	v_and_b32_e32 v2, v2, v4
	v_lshlrev_b32_e32 v4, 26, v14
	v_cmp_gt_i64_e32 vcc, 0, v[3:4]
	v_not_b32_e32 v4, v4
	v_ashrrev_i32_e32 v4, 31, v4
	v_and_b32_e32 v1, v1, v12
	v_xor_b32_e32 v12, vcc_hi, v4
	v_xor_b32_e32 v4, vcc_lo, v4
	v_and_b32_e32 v2, v2, v4
	v_lshlrev_b32_e32 v4, 25, v14
	v_cmp_gt_i64_e32 vcc, 0, v[3:4]
	v_not_b32_e32 v4, v4
	v_ashrrev_i32_e32 v4, 31, v4
	v_and_b32_e32 v1, v1, v12
	v_xor_b32_e32 v12, vcc_hi, v4
	v_xor_b32_e32 v4, vcc_lo, v4
	v_and_b32_e32 v1, v1, v12
	v_and_b32_e32 v12, v2, v4
	v_lshlrev_b32_e32 v4, 24, v14
	v_cmp_gt_i64_e32 vcc, 0, v[3:4]
	v_not_b32_e32 v2, v4
	v_ashrrev_i32_e32 v2, 31, v2
	v_xor_b32_e32 v4, vcc_hi, v2
	v_xor_b32_e32 v13, vcc_lo, v2
	v_and_b32_e32 v2, v1, v4
	v_and_b32_e32 v1, v12, v13
	v_mbcnt_lo_u32_b32 v4, v1, 0
	v_mbcnt_hi_u32_b32 v12, v2, v4
	v_cmp_ne_u64_e32 vcc, 0, v[1:2]
	v_cmp_eq_u32_e64 s[0:1], 0, v12
	s_and_b64 s[2:3], vcc, s[0:1]
	s_and_saveexec_b64 s[0:1], s[2:3]
; %bb.220:
	v_bcnt_u32_b32 v1, v1, 0
	v_bcnt_u32_b32 v1, v2, v1
	ds_write_b32 v10, v1 offset:16
; %bb.221:
	s_or_b64 exec, exec, s[0:1]
	v_xor_b32_e32 v11, 0x80000000, v11
	v_lshrrev_b32_e32 v1, s92, v11
	v_and_b32_e32 v1, s9, v1
	v_mul_lo_u32 v2, v1, 20
	v_and_b32_e32 v4, 1, v1
	; wave barrier
	v_lshl_add_u32 v14, v20, 2, v2
	v_add_co_u32_e32 v2, vcc, -1, v4
	v_addc_co_u32_e64 v16, s[0:1], 0, -1, vcc
	v_cmp_ne_u32_e32 vcc, 0, v4
	v_xor_b32_e32 v4, vcc_hi, v16
	v_and_b32_e32 v16, exec_hi, v4
	v_lshlrev_b32_e32 v4, 30, v1
	v_xor_b32_e32 v2, vcc_lo, v2
	v_cmp_gt_i64_e32 vcc, 0, v[3:4]
	v_not_b32_e32 v4, v4
	v_ashrrev_i32_e32 v4, 31, v4
	v_and_b32_e32 v2, exec_lo, v2
	v_xor_b32_e32 v17, vcc_hi, v4
	v_xor_b32_e32 v4, vcc_lo, v4
	v_and_b32_e32 v2, v2, v4
	v_lshlrev_b32_e32 v4, 29, v1
	v_cmp_gt_i64_e32 vcc, 0, v[3:4]
	v_not_b32_e32 v4, v4
	v_ashrrev_i32_e32 v4, 31, v4
	v_and_b32_e32 v16, v16, v17
	v_xor_b32_e32 v17, vcc_hi, v4
	v_xor_b32_e32 v4, vcc_lo, v4
	v_and_b32_e32 v2, v2, v4
	v_lshlrev_b32_e32 v4, 28, v1
	v_cmp_gt_i64_e32 vcc, 0, v[3:4]
	v_not_b32_e32 v4, v4
	v_ashrrev_i32_e32 v4, 31, v4
	v_and_b32_e32 v16, v16, v17
	;; [unrolled: 8-line block ×5, first 2 shown]
	v_xor_b32_e32 v17, vcc_hi, v4
	v_xor_b32_e32 v4, vcc_lo, v4
	v_and_b32_e32 v16, v16, v17
	v_and_b32_e32 v17, v2, v4
	v_lshlrev_b32_e32 v4, 24, v1
	v_cmp_gt_i64_e32 vcc, 0, v[3:4]
	v_not_b32_e32 v1, v4
	v_ashrrev_i32_e32 v1, 31, v1
	v_xor_b32_e32 v2, vcc_hi, v1
	v_xor_b32_e32 v1, vcc_lo, v1
	ds_read_b32 v13, v14 offset:16
	v_and_b32_e32 v1, v17, v1
	v_and_b32_e32 v2, v16, v2
	v_mbcnt_lo_u32_b32 v3, v1, 0
	v_mbcnt_hi_u32_b32 v16, v2, v3
	v_cmp_ne_u64_e32 vcc, 0, v[1:2]
	v_cmp_eq_u32_e64 s[0:1], 0, v16
	s_and_b64 s[2:3], vcc, s[0:1]
	; wave barrier
	s_and_saveexec_b64 s[0:1], s[2:3]
	s_cbranch_execz .LBB25_223
; %bb.222:
	v_bcnt_u32_b32 v1, v1, 0
	v_bcnt_u32_b32 v1, v2, v1
	s_waitcnt lgkmcnt(0)
	v_add_u32_e32 v1, v13, v1
	ds_write_b32 v14, v1 offset:16
.LBB25_223:
	s_or_b64 exec, exec, s[0:1]
	v_xor_b32_e32 v15, 0x80000000, v15
	v_lshrrev_b32_e32 v1, s92, v15
	v_and_b32_e32 v3, s9, v1
	v_mul_lo_u32 v1, v3, 20
	v_and_b32_e32 v2, 1, v3
	v_add_co_u32_e32 v4, vcc, -1, v2
	v_addc_co_u32_e64 v22, s[0:1], 0, -1, vcc
	v_cmp_ne_u32_e32 vcc, 0, v2
	v_xor_b32_e32 v2, vcc_hi, v22
	v_lshl_add_u32 v19, v20, 2, v1
	v_mov_b32_e32 v1, 0
	v_and_b32_e32 v22, exec_hi, v2
	v_lshlrev_b32_e32 v2, 30, v3
	v_xor_b32_e32 v4, vcc_lo, v4
	v_cmp_gt_i64_e32 vcc, 0, v[1:2]
	v_not_b32_e32 v2, v2
	v_ashrrev_i32_e32 v2, 31, v2
	v_and_b32_e32 v4, exec_lo, v4
	v_xor_b32_e32 v23, vcc_hi, v2
	v_xor_b32_e32 v2, vcc_lo, v2
	v_and_b32_e32 v4, v4, v2
	v_lshlrev_b32_e32 v2, 29, v3
	v_cmp_gt_i64_e32 vcc, 0, v[1:2]
	v_not_b32_e32 v2, v2
	v_ashrrev_i32_e32 v2, 31, v2
	v_and_b32_e32 v22, v22, v23
	v_xor_b32_e32 v23, vcc_hi, v2
	v_xor_b32_e32 v2, vcc_lo, v2
	v_and_b32_e32 v4, v4, v2
	v_lshlrev_b32_e32 v2, 28, v3
	v_cmp_gt_i64_e32 vcc, 0, v[1:2]
	v_not_b32_e32 v2, v2
	v_ashrrev_i32_e32 v2, 31, v2
	v_and_b32_e32 v22, v22, v23
	;; [unrolled: 8-line block ×5, first 2 shown]
	v_xor_b32_e32 v23, vcc_hi, v2
	v_xor_b32_e32 v2, vcc_lo, v2
	v_and_b32_e32 v4, v4, v2
	v_lshlrev_b32_e32 v2, 24, v3
	v_cmp_gt_i64_e32 vcc, 0, v[1:2]
	v_not_b32_e32 v2, v2
	v_ashrrev_i32_e32 v2, 31, v2
	v_xor_b32_e32 v3, vcc_hi, v2
	v_xor_b32_e32 v2, vcc_lo, v2
	; wave barrier
	ds_read_b32 v17, v19 offset:16
	v_and_b32_e32 v22, v22, v23
	v_and_b32_e32 v2, v4, v2
	;; [unrolled: 1-line block ×3, first 2 shown]
	v_mbcnt_lo_u32_b32 v4, v2, 0
	v_mbcnt_hi_u32_b32 v22, v3, v4
	v_cmp_ne_u64_e32 vcc, 0, v[2:3]
	v_cmp_eq_u32_e64 s[0:1], 0, v22
	s_and_b64 s[2:3], vcc, s[0:1]
	; wave barrier
	s_and_saveexec_b64 s[0:1], s[2:3]
	s_cbranch_execz .LBB25_225
; %bb.224:
	v_bcnt_u32_b32 v2, v2, 0
	v_bcnt_u32_b32 v2, v3, v2
	s_waitcnt lgkmcnt(0)
	v_add_u32_e32 v2, v17, v2
	ds_write_b32 v19, v2 offset:16
.LBB25_225:
	s_or_b64 exec, exec, s[0:1]
	v_xor_b32_e32 v21, 0x80000000, v21
	v_lshrrev_b32_e32 v2, s92, v21
	v_and_b32_e32 v3, s9, v2
	v_mul_lo_u32 v2, v3, 20
	v_and_b32_e32 v4, 1, v3
	; wave barrier
	v_lshl_add_u32 v25, v20, 2, v2
	v_add_co_u32_e32 v2, vcc, -1, v4
	v_addc_co_u32_e64 v27, s[0:1], 0, -1, vcc
	v_cmp_ne_u32_e32 vcc, 0, v4
	v_xor_b32_e32 v2, vcc_lo, v2
	v_xor_b32_e32 v4, vcc_hi, v27
	v_and_b32_e32 v27, exec_lo, v2
	v_lshlrev_b32_e32 v2, 30, v3
	v_cmp_gt_i64_e32 vcc, 0, v[1:2]
	v_not_b32_e32 v2, v2
	v_ashrrev_i32_e32 v2, 31, v2
	v_xor_b32_e32 v28, vcc_hi, v2
	v_xor_b32_e32 v2, vcc_lo, v2
	v_and_b32_e32 v27, v27, v2
	v_lshlrev_b32_e32 v2, 29, v3
	v_cmp_gt_i64_e32 vcc, 0, v[1:2]
	v_not_b32_e32 v2, v2
	v_and_b32_e32 v4, exec_hi, v4
	v_ashrrev_i32_e32 v2, 31, v2
	v_and_b32_e32 v4, v4, v28
	v_xor_b32_e32 v28, vcc_hi, v2
	v_xor_b32_e32 v2, vcc_lo, v2
	v_and_b32_e32 v27, v27, v2
	v_lshlrev_b32_e32 v2, 28, v3
	v_cmp_gt_i64_e32 vcc, 0, v[1:2]
	v_not_b32_e32 v2, v2
	v_ashrrev_i32_e32 v2, 31, v2
	v_and_b32_e32 v4, v4, v28
	v_xor_b32_e32 v28, vcc_hi, v2
	v_xor_b32_e32 v2, vcc_lo, v2
	v_and_b32_e32 v27, v27, v2
	v_lshlrev_b32_e32 v2, 27, v3
	v_cmp_gt_i64_e32 vcc, 0, v[1:2]
	v_not_b32_e32 v2, v2
	;; [unrolled: 8-line block ×5, first 2 shown]
	v_ashrrev_i32_e32 v1, 31, v1
	v_xor_b32_e32 v2, vcc_hi, v1
	v_xor_b32_e32 v1, vcc_lo, v1
	ds_read_b32 v23, v25 offset:16
	v_and_b32_e32 v4, v4, v28
	v_and_b32_e32 v1, v27, v1
	;; [unrolled: 1-line block ×3, first 2 shown]
	v_mbcnt_lo_u32_b32 v3, v1, 0
	v_mbcnt_hi_u32_b32 v27, v2, v3
	v_cmp_ne_u64_e32 vcc, 0, v[1:2]
	v_cmp_eq_u32_e64 s[0:1], 0, v27
	s_and_b64 s[2:3], vcc, s[0:1]
	; wave barrier
	s_and_saveexec_b64 s[0:1], s[2:3]
	s_cbranch_execz .LBB25_227
; %bb.226:
	v_bcnt_u32_b32 v1, v1, 0
	v_bcnt_u32_b32 v1, v2, v1
	s_waitcnt lgkmcnt(0)
	v_add_u32_e32 v1, v23, v1
	ds_write_b32 v25, v1 offset:16
.LBB25_227:
	s_or_b64 exec, exec, s[0:1]
	v_xor_b32_e32 v26, 0x80000000, v26
	v_lshrrev_b32_e32 v1, s92, v26
	v_and_b32_e32 v3, s9, v1
	v_mul_lo_u32 v1, v3, 20
	v_and_b32_e32 v2, 1, v3
	v_add_co_u32_e32 v4, vcc, -1, v2
	v_addc_co_u32_e64 v32, s[0:1], 0, -1, vcc
	v_cmp_ne_u32_e32 vcc, 0, v2
	v_xor_b32_e32 v2, vcc_hi, v32
	v_lshl_add_u32 v30, v20, 2, v1
	v_mov_b32_e32 v1, 0
	v_and_b32_e32 v32, exec_hi, v2
	v_lshlrev_b32_e32 v2, 30, v3
	v_xor_b32_e32 v4, vcc_lo, v4
	v_cmp_gt_i64_e32 vcc, 0, v[1:2]
	v_not_b32_e32 v2, v2
	v_ashrrev_i32_e32 v2, 31, v2
	v_and_b32_e32 v4, exec_lo, v4
	v_xor_b32_e32 v33, vcc_hi, v2
	v_xor_b32_e32 v2, vcc_lo, v2
	v_and_b32_e32 v4, v4, v2
	v_lshlrev_b32_e32 v2, 29, v3
	v_cmp_gt_i64_e32 vcc, 0, v[1:2]
	v_not_b32_e32 v2, v2
	v_ashrrev_i32_e32 v2, 31, v2
	v_and_b32_e32 v32, v32, v33
	v_xor_b32_e32 v33, vcc_hi, v2
	v_xor_b32_e32 v2, vcc_lo, v2
	v_and_b32_e32 v4, v4, v2
	v_lshlrev_b32_e32 v2, 28, v3
	v_cmp_gt_i64_e32 vcc, 0, v[1:2]
	v_not_b32_e32 v2, v2
	v_ashrrev_i32_e32 v2, 31, v2
	v_and_b32_e32 v32, v32, v33
	;; [unrolled: 8-line block ×5, first 2 shown]
	v_xor_b32_e32 v33, vcc_hi, v2
	v_xor_b32_e32 v2, vcc_lo, v2
	v_and_b32_e32 v4, v4, v2
	v_lshlrev_b32_e32 v2, 24, v3
	v_cmp_gt_i64_e32 vcc, 0, v[1:2]
	v_not_b32_e32 v2, v2
	v_ashrrev_i32_e32 v2, 31, v2
	v_xor_b32_e32 v3, vcc_hi, v2
	v_xor_b32_e32 v2, vcc_lo, v2
	; wave barrier
	ds_read_b32 v28, v30 offset:16
	v_and_b32_e32 v32, v32, v33
	v_and_b32_e32 v2, v4, v2
	;; [unrolled: 1-line block ×3, first 2 shown]
	v_mbcnt_lo_u32_b32 v4, v2, 0
	v_mbcnt_hi_u32_b32 v32, v3, v4
	v_cmp_ne_u64_e32 vcc, 0, v[2:3]
	v_cmp_eq_u32_e64 s[0:1], 0, v32
	s_and_b64 s[2:3], vcc, s[0:1]
	; wave barrier
	s_and_saveexec_b64 s[0:1], s[2:3]
	s_cbranch_execz .LBB25_229
; %bb.228:
	v_bcnt_u32_b32 v2, v2, 0
	v_bcnt_u32_b32 v2, v3, v2
	s_waitcnt lgkmcnt(0)
	v_add_u32_e32 v2, v28, v2
	ds_write_b32 v30, v2 offset:16
.LBB25_229:
	s_or_b64 exec, exec, s[0:1]
	v_xor_b32_e32 v31, 0x80000000, v31
	v_lshrrev_b32_e32 v2, s92, v31
	v_and_b32_e32 v3, s9, v2
	v_mul_lo_u32 v2, v3, 20
	v_and_b32_e32 v4, 1, v3
	; wave barrier
	v_lshl_add_u32 v35, v20, 2, v2
	v_add_co_u32_e32 v2, vcc, -1, v4
	v_addc_co_u32_e64 v37, s[0:1], 0, -1, vcc
	v_cmp_ne_u32_e32 vcc, 0, v4
	v_xor_b32_e32 v2, vcc_lo, v2
	v_xor_b32_e32 v4, vcc_hi, v37
	v_and_b32_e32 v37, exec_lo, v2
	v_lshlrev_b32_e32 v2, 30, v3
	v_cmp_gt_i64_e32 vcc, 0, v[1:2]
	v_not_b32_e32 v2, v2
	v_ashrrev_i32_e32 v2, 31, v2
	v_xor_b32_e32 v38, vcc_hi, v2
	v_xor_b32_e32 v2, vcc_lo, v2
	v_and_b32_e32 v37, v37, v2
	v_lshlrev_b32_e32 v2, 29, v3
	v_cmp_gt_i64_e32 vcc, 0, v[1:2]
	v_not_b32_e32 v2, v2
	v_and_b32_e32 v4, exec_hi, v4
	v_ashrrev_i32_e32 v2, 31, v2
	v_and_b32_e32 v4, v4, v38
	v_xor_b32_e32 v38, vcc_hi, v2
	v_xor_b32_e32 v2, vcc_lo, v2
	v_and_b32_e32 v37, v37, v2
	v_lshlrev_b32_e32 v2, 28, v3
	v_cmp_gt_i64_e32 vcc, 0, v[1:2]
	v_not_b32_e32 v2, v2
	v_ashrrev_i32_e32 v2, 31, v2
	v_and_b32_e32 v4, v4, v38
	v_xor_b32_e32 v38, vcc_hi, v2
	v_xor_b32_e32 v2, vcc_lo, v2
	v_and_b32_e32 v37, v37, v2
	v_lshlrev_b32_e32 v2, 27, v3
	v_cmp_gt_i64_e32 vcc, 0, v[1:2]
	v_not_b32_e32 v2, v2
	;; [unrolled: 8-line block ×5, first 2 shown]
	v_ashrrev_i32_e32 v1, 31, v1
	v_xor_b32_e32 v2, vcc_hi, v1
	v_xor_b32_e32 v1, vcc_lo, v1
	ds_read_b32 v33, v35 offset:16
	v_and_b32_e32 v4, v4, v38
	v_and_b32_e32 v1, v37, v1
	;; [unrolled: 1-line block ×3, first 2 shown]
	v_mbcnt_lo_u32_b32 v3, v1, 0
	v_mbcnt_hi_u32_b32 v37, v2, v3
	v_cmp_ne_u64_e32 vcc, 0, v[1:2]
	v_cmp_eq_u32_e64 s[0:1], 0, v37
	s_and_b64 s[2:3], vcc, s[0:1]
	; wave barrier
	s_and_saveexec_b64 s[0:1], s[2:3]
	s_cbranch_execz .LBB25_231
; %bb.230:
	v_bcnt_u32_b32 v1, v1, 0
	v_bcnt_u32_b32 v1, v2, v1
	s_waitcnt lgkmcnt(0)
	v_add_u32_e32 v1, v33, v1
	ds_write_b32 v35, v1 offset:16
.LBB25_231:
	s_or_b64 exec, exec, s[0:1]
	v_xor_b32_e32 v36, 0x80000000, v36
	v_lshrrev_b32_e32 v1, s92, v36
	v_and_b32_e32 v3, s9, v1
	v_mul_lo_u32 v1, v3, 20
	v_and_b32_e32 v2, 1, v3
	v_add_co_u32_e32 v4, vcc, -1, v2
	v_addc_co_u32_e64 v42, s[0:1], 0, -1, vcc
	v_cmp_ne_u32_e32 vcc, 0, v2
	v_xor_b32_e32 v2, vcc_hi, v42
	v_lshl_add_u32 v40, v20, 2, v1
	v_mov_b32_e32 v1, 0
	v_and_b32_e32 v42, exec_hi, v2
	v_lshlrev_b32_e32 v2, 30, v3
	v_xor_b32_e32 v4, vcc_lo, v4
	v_cmp_gt_i64_e32 vcc, 0, v[1:2]
	v_not_b32_e32 v2, v2
	v_ashrrev_i32_e32 v2, 31, v2
	v_and_b32_e32 v4, exec_lo, v4
	v_xor_b32_e32 v43, vcc_hi, v2
	v_xor_b32_e32 v2, vcc_lo, v2
	v_and_b32_e32 v4, v4, v2
	v_lshlrev_b32_e32 v2, 29, v3
	v_cmp_gt_i64_e32 vcc, 0, v[1:2]
	v_not_b32_e32 v2, v2
	v_ashrrev_i32_e32 v2, 31, v2
	v_and_b32_e32 v42, v42, v43
	v_xor_b32_e32 v43, vcc_hi, v2
	v_xor_b32_e32 v2, vcc_lo, v2
	v_and_b32_e32 v4, v4, v2
	v_lshlrev_b32_e32 v2, 28, v3
	v_cmp_gt_i64_e32 vcc, 0, v[1:2]
	v_not_b32_e32 v2, v2
	v_ashrrev_i32_e32 v2, 31, v2
	v_and_b32_e32 v42, v42, v43
	;; [unrolled: 8-line block ×5, first 2 shown]
	v_xor_b32_e32 v43, vcc_hi, v2
	v_xor_b32_e32 v2, vcc_lo, v2
	v_and_b32_e32 v4, v4, v2
	v_lshlrev_b32_e32 v2, 24, v3
	v_cmp_gt_i64_e32 vcc, 0, v[1:2]
	v_not_b32_e32 v2, v2
	v_ashrrev_i32_e32 v2, 31, v2
	v_xor_b32_e32 v3, vcc_hi, v2
	v_xor_b32_e32 v2, vcc_lo, v2
	; wave barrier
	ds_read_b32 v38, v40 offset:16
	v_and_b32_e32 v42, v42, v43
	v_and_b32_e32 v2, v4, v2
	;; [unrolled: 1-line block ×3, first 2 shown]
	v_mbcnt_lo_u32_b32 v4, v2, 0
	v_mbcnt_hi_u32_b32 v42, v3, v4
	v_cmp_ne_u64_e32 vcc, 0, v[2:3]
	v_cmp_eq_u32_e64 s[0:1], 0, v42
	s_and_b64 s[2:3], vcc, s[0:1]
	; wave barrier
	s_and_saveexec_b64 s[0:1], s[2:3]
	s_cbranch_execz .LBB25_233
; %bb.232:
	v_bcnt_u32_b32 v2, v2, 0
	v_bcnt_u32_b32 v2, v3, v2
	s_waitcnt lgkmcnt(0)
	v_add_u32_e32 v2, v38, v2
	ds_write_b32 v40, v2 offset:16
.LBB25_233:
	s_or_b64 exec, exec, s[0:1]
	v_xor_b32_e32 v41, 0x80000000, v41
	v_lshrrev_b32_e32 v2, s92, v41
	v_and_b32_e32 v3, s9, v2
	v_mul_lo_u32 v2, v3, 20
	v_and_b32_e32 v4, 1, v3
	; wave barrier
	v_lshl_add_u32 v45, v20, 2, v2
	v_add_co_u32_e32 v2, vcc, -1, v4
	v_addc_co_u32_e64 v47, s[0:1], 0, -1, vcc
	v_cmp_ne_u32_e32 vcc, 0, v4
	v_xor_b32_e32 v2, vcc_lo, v2
	v_xor_b32_e32 v4, vcc_hi, v47
	v_and_b32_e32 v47, exec_lo, v2
	v_lshlrev_b32_e32 v2, 30, v3
	v_cmp_gt_i64_e32 vcc, 0, v[1:2]
	v_not_b32_e32 v2, v2
	v_ashrrev_i32_e32 v2, 31, v2
	v_xor_b32_e32 v48, vcc_hi, v2
	v_xor_b32_e32 v2, vcc_lo, v2
	v_and_b32_e32 v47, v47, v2
	v_lshlrev_b32_e32 v2, 29, v3
	v_cmp_gt_i64_e32 vcc, 0, v[1:2]
	v_not_b32_e32 v2, v2
	v_and_b32_e32 v4, exec_hi, v4
	v_ashrrev_i32_e32 v2, 31, v2
	v_and_b32_e32 v4, v4, v48
	v_xor_b32_e32 v48, vcc_hi, v2
	v_xor_b32_e32 v2, vcc_lo, v2
	v_and_b32_e32 v47, v47, v2
	v_lshlrev_b32_e32 v2, 28, v3
	v_cmp_gt_i64_e32 vcc, 0, v[1:2]
	v_not_b32_e32 v2, v2
	v_ashrrev_i32_e32 v2, 31, v2
	v_and_b32_e32 v4, v4, v48
	v_xor_b32_e32 v48, vcc_hi, v2
	v_xor_b32_e32 v2, vcc_lo, v2
	v_and_b32_e32 v47, v47, v2
	v_lshlrev_b32_e32 v2, 27, v3
	v_cmp_gt_i64_e32 vcc, 0, v[1:2]
	v_not_b32_e32 v2, v2
	;; [unrolled: 8-line block ×5, first 2 shown]
	v_ashrrev_i32_e32 v1, 31, v1
	v_xor_b32_e32 v2, vcc_hi, v1
	v_xor_b32_e32 v1, vcc_lo, v1
	ds_read_b32 v43, v45 offset:16
	v_and_b32_e32 v4, v4, v48
	v_and_b32_e32 v1, v47, v1
	;; [unrolled: 1-line block ×3, first 2 shown]
	v_mbcnt_lo_u32_b32 v3, v1, 0
	v_mbcnt_hi_u32_b32 v47, v2, v3
	v_cmp_ne_u64_e32 vcc, 0, v[1:2]
	v_cmp_eq_u32_e64 s[0:1], 0, v47
	s_and_b64 s[2:3], vcc, s[0:1]
	; wave barrier
	s_and_saveexec_b64 s[0:1], s[2:3]
	s_cbranch_execz .LBB25_235
; %bb.234:
	v_bcnt_u32_b32 v1, v1, 0
	v_bcnt_u32_b32 v1, v2, v1
	s_waitcnt lgkmcnt(0)
	v_add_u32_e32 v1, v43, v1
	ds_write_b32 v45, v1 offset:16
.LBB25_235:
	s_or_b64 exec, exec, s[0:1]
	v_xor_b32_e32 v46, 0x80000000, v46
	v_lshrrev_b32_e32 v1, s92, v46
	v_and_b32_e32 v3, s9, v1
	v_mul_lo_u32 v1, v3, 20
	v_and_b32_e32 v2, 1, v3
	v_add_co_u32_e32 v4, vcc, -1, v2
	v_addc_co_u32_e64 v52, s[0:1], 0, -1, vcc
	v_cmp_ne_u32_e32 vcc, 0, v2
	v_xor_b32_e32 v2, vcc_hi, v52
	v_lshl_add_u32 v50, v20, 2, v1
	v_mov_b32_e32 v1, 0
	v_and_b32_e32 v52, exec_hi, v2
	v_lshlrev_b32_e32 v2, 30, v3
	v_xor_b32_e32 v4, vcc_lo, v4
	v_cmp_gt_i64_e32 vcc, 0, v[1:2]
	v_not_b32_e32 v2, v2
	v_ashrrev_i32_e32 v2, 31, v2
	v_and_b32_e32 v4, exec_lo, v4
	v_xor_b32_e32 v53, vcc_hi, v2
	v_xor_b32_e32 v2, vcc_lo, v2
	v_and_b32_e32 v4, v4, v2
	v_lshlrev_b32_e32 v2, 29, v3
	v_cmp_gt_i64_e32 vcc, 0, v[1:2]
	v_not_b32_e32 v2, v2
	v_ashrrev_i32_e32 v2, 31, v2
	v_and_b32_e32 v52, v52, v53
	v_xor_b32_e32 v53, vcc_hi, v2
	v_xor_b32_e32 v2, vcc_lo, v2
	v_and_b32_e32 v4, v4, v2
	v_lshlrev_b32_e32 v2, 28, v3
	v_cmp_gt_i64_e32 vcc, 0, v[1:2]
	v_not_b32_e32 v2, v2
	v_ashrrev_i32_e32 v2, 31, v2
	v_and_b32_e32 v52, v52, v53
	v_xor_b32_e32 v53, vcc_hi, v2
	v_xor_b32_e32 v2, vcc_lo, v2
	v_and_b32_e32 v4, v4, v2
	v_lshlrev_b32_e32 v2, 27, v3
	v_cmp_gt_i64_e32 vcc, 0, v[1:2]
	v_not_b32_e32 v2, v2
	v_ashrrev_i32_e32 v2, 31, v2
	v_and_b32_e32 v52, v52, v53
	v_xor_b32_e32 v53, vcc_hi, v2
	v_xor_b32_e32 v2, vcc_lo, v2
	v_and_b32_e32 v4, v4, v2
	v_lshlrev_b32_e32 v2, 26, v3
	v_cmp_gt_i64_e32 vcc, 0, v[1:2]
	v_not_b32_e32 v2, v2
	v_ashrrev_i32_e32 v2, 31, v2
	v_and_b32_e32 v52, v52, v53
	v_xor_b32_e32 v53, vcc_hi, v2
	v_xor_b32_e32 v2, vcc_lo, v2
	v_and_b32_e32 v4, v4, v2
	v_lshlrev_b32_e32 v2, 25, v3
	v_cmp_gt_i64_e32 vcc, 0, v[1:2]
	v_not_b32_e32 v2, v2
	v_ashrrev_i32_e32 v2, 31, v2
	v_and_b32_e32 v52, v52, v53
	v_xor_b32_e32 v53, vcc_hi, v2
	v_xor_b32_e32 v2, vcc_lo, v2
	v_and_b32_e32 v4, v4, v2
	v_lshlrev_b32_e32 v2, 24, v3
	v_cmp_gt_i64_e32 vcc, 0, v[1:2]
	v_not_b32_e32 v2, v2
	v_ashrrev_i32_e32 v2, 31, v2
	v_xor_b32_e32 v3, vcc_hi, v2
	v_xor_b32_e32 v2, vcc_lo, v2
	; wave barrier
	ds_read_b32 v48, v50 offset:16
	v_and_b32_e32 v52, v52, v53
	v_and_b32_e32 v2, v4, v2
	;; [unrolled: 1-line block ×3, first 2 shown]
	v_mbcnt_lo_u32_b32 v4, v2, 0
	v_mbcnt_hi_u32_b32 v52, v3, v4
	v_cmp_ne_u64_e32 vcc, 0, v[2:3]
	v_cmp_eq_u32_e64 s[0:1], 0, v52
	s_and_b64 s[2:3], vcc, s[0:1]
	; wave barrier
	s_and_saveexec_b64 s[0:1], s[2:3]
	s_cbranch_execz .LBB25_237
; %bb.236:
	v_bcnt_u32_b32 v2, v2, 0
	v_bcnt_u32_b32 v2, v3, v2
	s_waitcnt lgkmcnt(0)
	v_add_u32_e32 v2, v48, v2
	ds_write_b32 v50, v2 offset:16
.LBB25_237:
	s_or_b64 exec, exec, s[0:1]
	v_xor_b32_e32 v51, 0x80000000, v51
	v_lshrrev_b32_e32 v2, s92, v51
	v_and_b32_e32 v3, s9, v2
	v_mul_lo_u32 v2, v3, 20
	v_and_b32_e32 v4, 1, v3
	; wave barrier
	v_lshl_add_u32 v55, v20, 2, v2
	v_add_co_u32_e32 v2, vcc, -1, v4
	v_addc_co_u32_e64 v56, s[0:1], 0, -1, vcc
	v_cmp_ne_u32_e32 vcc, 0, v4
	v_xor_b32_e32 v2, vcc_lo, v2
	v_xor_b32_e32 v4, vcc_hi, v56
	v_and_b32_e32 v56, exec_lo, v2
	v_lshlrev_b32_e32 v2, 30, v3
	v_cmp_gt_i64_e32 vcc, 0, v[1:2]
	v_not_b32_e32 v2, v2
	v_ashrrev_i32_e32 v2, 31, v2
	v_xor_b32_e32 v57, vcc_hi, v2
	v_xor_b32_e32 v2, vcc_lo, v2
	v_and_b32_e32 v56, v56, v2
	v_lshlrev_b32_e32 v2, 29, v3
	v_cmp_gt_i64_e32 vcc, 0, v[1:2]
	v_not_b32_e32 v2, v2
	v_and_b32_e32 v4, exec_hi, v4
	v_ashrrev_i32_e32 v2, 31, v2
	v_and_b32_e32 v4, v4, v57
	v_xor_b32_e32 v57, vcc_hi, v2
	v_xor_b32_e32 v2, vcc_lo, v2
	v_and_b32_e32 v56, v56, v2
	v_lshlrev_b32_e32 v2, 28, v3
	v_cmp_gt_i64_e32 vcc, 0, v[1:2]
	v_not_b32_e32 v2, v2
	v_ashrrev_i32_e32 v2, 31, v2
	v_and_b32_e32 v4, v4, v57
	v_xor_b32_e32 v57, vcc_hi, v2
	v_xor_b32_e32 v2, vcc_lo, v2
	v_and_b32_e32 v56, v56, v2
	v_lshlrev_b32_e32 v2, 27, v3
	v_cmp_gt_i64_e32 vcc, 0, v[1:2]
	v_not_b32_e32 v2, v2
	;; [unrolled: 8-line block ×5, first 2 shown]
	v_ashrrev_i32_e32 v1, 31, v1
	v_xor_b32_e32 v2, vcc_hi, v1
	v_xor_b32_e32 v1, vcc_lo, v1
	ds_read_b32 v53, v55 offset:16
	v_and_b32_e32 v4, v4, v57
	v_and_b32_e32 v1, v56, v1
	v_and_b32_e32 v2, v4, v2
	v_mbcnt_lo_u32_b32 v3, v1, 0
	v_mbcnt_hi_u32_b32 v56, v2, v3
	v_cmp_ne_u64_e32 vcc, 0, v[1:2]
	v_cmp_eq_u32_e64 s[0:1], 0, v56
	s_and_b64 s[2:3], vcc, s[0:1]
	; wave barrier
	s_and_saveexec_b64 s[0:1], s[2:3]
	s_cbranch_execz .LBB25_239
; %bb.238:
	v_bcnt_u32_b32 v1, v1, 0
	v_bcnt_u32_b32 v1, v2, v1
	s_waitcnt lgkmcnt(0)
	v_add_u32_e32 v1, v53, v1
	ds_write_b32 v55, v1 offset:16
.LBB25_239:
	s_or_b64 exec, exec, s[0:1]
	v_xor_b32_e32 v54, 0x80000000, v54
	v_lshrrev_b32_e32 v1, s92, v54
	v_and_b32_e32 v3, s9, v1
	v_mul_lo_u32 v1, v3, 20
	v_and_b32_e32 v2, 1, v3
	v_add_co_u32_e32 v4, vcc, -1, v2
	v_addc_co_u32_e64 v59, s[0:1], 0, -1, vcc
	v_cmp_ne_u32_e32 vcc, 0, v2
	v_xor_b32_e32 v2, vcc_hi, v59
	v_lshl_add_u32 v58, v20, 2, v1
	v_mov_b32_e32 v1, 0
	v_and_b32_e32 v59, exec_hi, v2
	v_lshlrev_b32_e32 v2, 30, v3
	v_xor_b32_e32 v4, vcc_lo, v4
	v_cmp_gt_i64_e32 vcc, 0, v[1:2]
	v_not_b32_e32 v2, v2
	v_ashrrev_i32_e32 v2, 31, v2
	v_and_b32_e32 v4, exec_lo, v4
	v_xor_b32_e32 v60, vcc_hi, v2
	v_xor_b32_e32 v2, vcc_lo, v2
	v_and_b32_e32 v4, v4, v2
	v_lshlrev_b32_e32 v2, 29, v3
	v_cmp_gt_i64_e32 vcc, 0, v[1:2]
	v_not_b32_e32 v2, v2
	v_ashrrev_i32_e32 v2, 31, v2
	v_and_b32_e32 v59, v59, v60
	v_xor_b32_e32 v60, vcc_hi, v2
	v_xor_b32_e32 v2, vcc_lo, v2
	v_and_b32_e32 v4, v4, v2
	v_lshlrev_b32_e32 v2, 28, v3
	v_cmp_gt_i64_e32 vcc, 0, v[1:2]
	v_not_b32_e32 v2, v2
	v_ashrrev_i32_e32 v2, 31, v2
	v_and_b32_e32 v59, v59, v60
	;; [unrolled: 8-line block ×5, first 2 shown]
	v_xor_b32_e32 v60, vcc_hi, v2
	v_xor_b32_e32 v2, vcc_lo, v2
	v_and_b32_e32 v4, v4, v2
	v_lshlrev_b32_e32 v2, 24, v3
	v_cmp_gt_i64_e32 vcc, 0, v[1:2]
	v_not_b32_e32 v2, v2
	v_ashrrev_i32_e32 v2, 31, v2
	v_xor_b32_e32 v3, vcc_hi, v2
	v_xor_b32_e32 v2, vcc_lo, v2
	; wave barrier
	ds_read_b32 v57, v58 offset:16
	v_and_b32_e32 v59, v59, v60
	v_and_b32_e32 v2, v4, v2
	;; [unrolled: 1-line block ×3, first 2 shown]
	v_mbcnt_lo_u32_b32 v4, v2, 0
	v_mbcnt_hi_u32_b32 v59, v3, v4
	v_cmp_ne_u64_e32 vcc, 0, v[2:3]
	v_cmp_eq_u32_e64 s[0:1], 0, v59
	s_and_b64 s[2:3], vcc, s[0:1]
	; wave barrier
	s_and_saveexec_b64 s[0:1], s[2:3]
	s_cbranch_execz .LBB25_241
; %bb.240:
	v_bcnt_u32_b32 v2, v2, 0
	v_bcnt_u32_b32 v2, v3, v2
	s_waitcnt lgkmcnt(0)
	v_add_u32_e32 v2, v57, v2
	ds_write_b32 v58, v2 offset:16
.LBB25_241:
	s_or_b64 exec, exec, s[0:1]
	v_xor_b32_e32 v49, 0x80000000, v49
	v_lshrrev_b32_e32 v2, s92, v49
	v_and_b32_e32 v3, s9, v2
	v_mul_lo_u32 v2, v3, 20
	v_and_b32_e32 v4, 1, v3
	; wave barrier
	v_lshl_add_u32 v61, v20, 2, v2
	v_add_co_u32_e32 v2, vcc, -1, v4
	v_addc_co_u32_e64 v62, s[0:1], 0, -1, vcc
	v_cmp_ne_u32_e32 vcc, 0, v4
	v_xor_b32_e32 v2, vcc_lo, v2
	v_xor_b32_e32 v4, vcc_hi, v62
	v_and_b32_e32 v62, exec_lo, v2
	v_lshlrev_b32_e32 v2, 30, v3
	v_cmp_gt_i64_e32 vcc, 0, v[1:2]
	v_not_b32_e32 v2, v2
	v_ashrrev_i32_e32 v2, 31, v2
	v_xor_b32_e32 v63, vcc_hi, v2
	v_xor_b32_e32 v2, vcc_lo, v2
	v_and_b32_e32 v62, v62, v2
	v_lshlrev_b32_e32 v2, 29, v3
	v_cmp_gt_i64_e32 vcc, 0, v[1:2]
	v_not_b32_e32 v2, v2
	v_and_b32_e32 v4, exec_hi, v4
	v_ashrrev_i32_e32 v2, 31, v2
	v_and_b32_e32 v4, v4, v63
	v_xor_b32_e32 v63, vcc_hi, v2
	v_xor_b32_e32 v2, vcc_lo, v2
	v_and_b32_e32 v62, v62, v2
	v_lshlrev_b32_e32 v2, 28, v3
	v_cmp_gt_i64_e32 vcc, 0, v[1:2]
	v_not_b32_e32 v2, v2
	v_ashrrev_i32_e32 v2, 31, v2
	v_and_b32_e32 v4, v4, v63
	v_xor_b32_e32 v63, vcc_hi, v2
	v_xor_b32_e32 v2, vcc_lo, v2
	v_and_b32_e32 v62, v62, v2
	v_lshlrev_b32_e32 v2, 27, v3
	v_cmp_gt_i64_e32 vcc, 0, v[1:2]
	v_not_b32_e32 v2, v2
	;; [unrolled: 8-line block ×5, first 2 shown]
	v_ashrrev_i32_e32 v1, 31, v1
	v_xor_b32_e32 v2, vcc_hi, v1
	v_xor_b32_e32 v1, vcc_lo, v1
	ds_read_b32 v60, v61 offset:16
	v_and_b32_e32 v4, v4, v63
	v_and_b32_e32 v1, v62, v1
	;; [unrolled: 1-line block ×3, first 2 shown]
	v_mbcnt_lo_u32_b32 v3, v1, 0
	v_mbcnt_hi_u32_b32 v62, v2, v3
	v_cmp_ne_u64_e32 vcc, 0, v[1:2]
	v_cmp_eq_u32_e64 s[0:1], 0, v62
	s_and_b64 s[2:3], vcc, s[0:1]
	; wave barrier
	s_and_saveexec_b64 s[0:1], s[2:3]
	s_cbranch_execz .LBB25_243
; %bb.242:
	v_bcnt_u32_b32 v1, v1, 0
	v_bcnt_u32_b32 v1, v2, v1
	s_waitcnt lgkmcnt(0)
	v_add_u32_e32 v1, v60, v1
	ds_write_b32 v61, v1 offset:16
.LBB25_243:
	s_or_b64 exec, exec, s[0:1]
	v_xor_b32_e32 v44, 0x80000000, v44
	v_lshrrev_b32_e32 v1, s92, v44
	v_and_b32_e32 v3, s9, v1
	v_mul_lo_u32 v1, v3, 20
	v_and_b32_e32 v2, 1, v3
	v_add_co_u32_e32 v4, vcc, -1, v2
	v_addc_co_u32_e64 v65, s[0:1], 0, -1, vcc
	v_cmp_ne_u32_e32 vcc, 0, v2
	v_xor_b32_e32 v2, vcc_hi, v65
	v_lshl_add_u32 v64, v20, 2, v1
	v_mov_b32_e32 v1, 0
	v_and_b32_e32 v65, exec_hi, v2
	v_lshlrev_b32_e32 v2, 30, v3
	v_xor_b32_e32 v4, vcc_lo, v4
	v_cmp_gt_i64_e32 vcc, 0, v[1:2]
	v_not_b32_e32 v2, v2
	v_ashrrev_i32_e32 v2, 31, v2
	v_and_b32_e32 v4, exec_lo, v4
	v_xor_b32_e32 v66, vcc_hi, v2
	v_xor_b32_e32 v2, vcc_lo, v2
	v_and_b32_e32 v4, v4, v2
	v_lshlrev_b32_e32 v2, 29, v3
	v_cmp_gt_i64_e32 vcc, 0, v[1:2]
	v_not_b32_e32 v2, v2
	v_ashrrev_i32_e32 v2, 31, v2
	v_and_b32_e32 v65, v65, v66
	v_xor_b32_e32 v66, vcc_hi, v2
	v_xor_b32_e32 v2, vcc_lo, v2
	v_and_b32_e32 v4, v4, v2
	v_lshlrev_b32_e32 v2, 28, v3
	v_cmp_gt_i64_e32 vcc, 0, v[1:2]
	v_not_b32_e32 v2, v2
	v_ashrrev_i32_e32 v2, 31, v2
	v_and_b32_e32 v65, v65, v66
	;; [unrolled: 8-line block ×5, first 2 shown]
	v_xor_b32_e32 v66, vcc_hi, v2
	v_xor_b32_e32 v2, vcc_lo, v2
	v_and_b32_e32 v4, v4, v2
	v_lshlrev_b32_e32 v2, 24, v3
	v_cmp_gt_i64_e32 vcc, 0, v[1:2]
	v_not_b32_e32 v2, v2
	v_ashrrev_i32_e32 v2, 31, v2
	v_xor_b32_e32 v3, vcc_hi, v2
	v_xor_b32_e32 v2, vcc_lo, v2
	; wave barrier
	ds_read_b32 v63, v64 offset:16
	v_and_b32_e32 v65, v65, v66
	v_and_b32_e32 v2, v4, v2
	;; [unrolled: 1-line block ×3, first 2 shown]
	v_mbcnt_lo_u32_b32 v4, v2, 0
	v_mbcnt_hi_u32_b32 v65, v3, v4
	v_cmp_ne_u64_e32 vcc, 0, v[2:3]
	v_cmp_eq_u32_e64 s[0:1], 0, v65
	s_and_b64 s[2:3], vcc, s[0:1]
	; wave barrier
	s_and_saveexec_b64 s[0:1], s[2:3]
	s_cbranch_execz .LBB25_245
; %bb.244:
	v_bcnt_u32_b32 v2, v2, 0
	v_bcnt_u32_b32 v2, v3, v2
	s_waitcnt lgkmcnt(0)
	v_add_u32_e32 v2, v63, v2
	ds_write_b32 v64, v2 offset:16
.LBB25_245:
	s_or_b64 exec, exec, s[0:1]
	v_xor_b32_e32 v39, 0x80000000, v39
	v_lshrrev_b32_e32 v2, s92, v39
	v_and_b32_e32 v3, s9, v2
	v_mul_lo_u32 v2, v3, 20
	v_and_b32_e32 v4, 1, v3
	; wave barrier
	v_lshl_add_u32 v67, v20, 2, v2
	v_add_co_u32_e32 v2, vcc, -1, v4
	v_addc_co_u32_e64 v68, s[0:1], 0, -1, vcc
	v_cmp_ne_u32_e32 vcc, 0, v4
	v_xor_b32_e32 v2, vcc_lo, v2
	v_xor_b32_e32 v4, vcc_hi, v68
	v_and_b32_e32 v68, exec_lo, v2
	v_lshlrev_b32_e32 v2, 30, v3
	v_cmp_gt_i64_e32 vcc, 0, v[1:2]
	v_not_b32_e32 v2, v2
	v_ashrrev_i32_e32 v2, 31, v2
	v_xor_b32_e32 v69, vcc_hi, v2
	v_xor_b32_e32 v2, vcc_lo, v2
	v_and_b32_e32 v68, v68, v2
	v_lshlrev_b32_e32 v2, 29, v3
	v_cmp_gt_i64_e32 vcc, 0, v[1:2]
	v_not_b32_e32 v2, v2
	v_and_b32_e32 v4, exec_hi, v4
	v_ashrrev_i32_e32 v2, 31, v2
	v_and_b32_e32 v4, v4, v69
	v_xor_b32_e32 v69, vcc_hi, v2
	v_xor_b32_e32 v2, vcc_lo, v2
	v_and_b32_e32 v68, v68, v2
	v_lshlrev_b32_e32 v2, 28, v3
	v_cmp_gt_i64_e32 vcc, 0, v[1:2]
	v_not_b32_e32 v2, v2
	v_ashrrev_i32_e32 v2, 31, v2
	v_and_b32_e32 v4, v4, v69
	v_xor_b32_e32 v69, vcc_hi, v2
	v_xor_b32_e32 v2, vcc_lo, v2
	v_and_b32_e32 v68, v68, v2
	v_lshlrev_b32_e32 v2, 27, v3
	v_cmp_gt_i64_e32 vcc, 0, v[1:2]
	v_not_b32_e32 v2, v2
	;; [unrolled: 8-line block ×5, first 2 shown]
	v_ashrrev_i32_e32 v1, 31, v1
	v_xor_b32_e32 v2, vcc_hi, v1
	v_xor_b32_e32 v1, vcc_lo, v1
	ds_read_b32 v66, v67 offset:16
	v_and_b32_e32 v4, v4, v69
	v_and_b32_e32 v1, v68, v1
	;; [unrolled: 1-line block ×3, first 2 shown]
	v_mbcnt_lo_u32_b32 v3, v1, 0
	v_mbcnt_hi_u32_b32 v69, v2, v3
	v_cmp_ne_u64_e32 vcc, 0, v[1:2]
	v_cmp_eq_u32_e64 s[0:1], 0, v69
	s_and_b64 s[2:3], vcc, s[0:1]
	; wave barrier
	s_and_saveexec_b64 s[0:1], s[2:3]
	s_cbranch_execz .LBB25_247
; %bb.246:
	v_bcnt_u32_b32 v1, v1, 0
	v_bcnt_u32_b32 v1, v2, v1
	s_waitcnt lgkmcnt(0)
	v_add_u32_e32 v1, v66, v1
	ds_write_b32 v67, v1 offset:16
.LBB25_247:
	s_or_b64 exec, exec, s[0:1]
	v_xor_b32_e32 v68, 0x80000000, v34
	v_lshrrev_b32_e32 v1, s92, v68
	v_and_b32_e32 v3, s9, v1
	v_mul_lo_u32 v1, v3, 20
	v_and_b32_e32 v2, 1, v3
	v_add_co_u32_e32 v4, vcc, -1, v2
	v_addc_co_u32_e64 v71, s[0:1], 0, -1, vcc
	v_cmp_ne_u32_e32 vcc, 0, v2
	v_xor_b32_e32 v2, vcc_hi, v71
	v_lshl_add_u32 v34, v20, 2, v1
	v_mov_b32_e32 v1, 0
	v_and_b32_e32 v71, exec_hi, v2
	v_lshlrev_b32_e32 v2, 30, v3
	v_xor_b32_e32 v4, vcc_lo, v4
	v_cmp_gt_i64_e32 vcc, 0, v[1:2]
	v_not_b32_e32 v2, v2
	v_ashrrev_i32_e32 v2, 31, v2
	v_and_b32_e32 v4, exec_lo, v4
	v_xor_b32_e32 v72, vcc_hi, v2
	v_xor_b32_e32 v2, vcc_lo, v2
	v_and_b32_e32 v4, v4, v2
	v_lshlrev_b32_e32 v2, 29, v3
	v_cmp_gt_i64_e32 vcc, 0, v[1:2]
	v_not_b32_e32 v2, v2
	v_ashrrev_i32_e32 v2, 31, v2
	v_and_b32_e32 v71, v71, v72
	v_xor_b32_e32 v72, vcc_hi, v2
	v_xor_b32_e32 v2, vcc_lo, v2
	v_and_b32_e32 v4, v4, v2
	v_lshlrev_b32_e32 v2, 28, v3
	v_cmp_gt_i64_e32 vcc, 0, v[1:2]
	v_not_b32_e32 v2, v2
	v_ashrrev_i32_e32 v2, 31, v2
	v_and_b32_e32 v71, v71, v72
	;; [unrolled: 8-line block ×5, first 2 shown]
	v_xor_b32_e32 v72, vcc_hi, v2
	v_xor_b32_e32 v2, vcc_lo, v2
	v_and_b32_e32 v4, v4, v2
	v_lshlrev_b32_e32 v2, 24, v3
	v_cmp_gt_i64_e32 vcc, 0, v[1:2]
	v_not_b32_e32 v2, v2
	v_ashrrev_i32_e32 v2, 31, v2
	v_xor_b32_e32 v3, vcc_hi, v2
	v_xor_b32_e32 v2, vcc_lo, v2
	; wave barrier
	ds_read_b32 v70, v34 offset:16
	v_and_b32_e32 v71, v71, v72
	v_and_b32_e32 v2, v4, v2
	;; [unrolled: 1-line block ×3, first 2 shown]
	v_mbcnt_lo_u32_b32 v4, v2, 0
	v_mbcnt_hi_u32_b32 v72, v3, v4
	v_cmp_ne_u64_e32 vcc, 0, v[2:3]
	v_cmp_eq_u32_e64 s[0:1], 0, v72
	s_and_b64 s[2:3], vcc, s[0:1]
	; wave barrier
	s_and_saveexec_b64 s[0:1], s[2:3]
	s_cbranch_execz .LBB25_249
; %bb.248:
	v_bcnt_u32_b32 v2, v2, 0
	v_bcnt_u32_b32 v2, v3, v2
	s_waitcnt lgkmcnt(0)
	v_add_u32_e32 v2, v70, v2
	ds_write_b32 v34, v2 offset:16
.LBB25_249:
	s_or_b64 exec, exec, s[0:1]
	v_xor_b32_e32 v71, 0x80000000, v29
	v_lshrrev_b32_e32 v2, s92, v71
	v_and_b32_e32 v3, s9, v2
	v_mul_lo_u32 v2, v3, 20
	v_and_b32_e32 v4, 1, v3
	; wave barrier
	v_lshl_add_u32 v29, v20, 2, v2
	v_add_co_u32_e32 v2, vcc, -1, v4
	v_addc_co_u32_e64 v74, s[0:1], 0, -1, vcc
	v_cmp_ne_u32_e32 vcc, 0, v4
	v_xor_b32_e32 v2, vcc_lo, v2
	v_xor_b32_e32 v4, vcc_hi, v74
	v_and_b32_e32 v74, exec_lo, v2
	v_lshlrev_b32_e32 v2, 30, v3
	v_cmp_gt_i64_e32 vcc, 0, v[1:2]
	v_not_b32_e32 v2, v2
	v_ashrrev_i32_e32 v2, 31, v2
	v_xor_b32_e32 v75, vcc_hi, v2
	v_xor_b32_e32 v2, vcc_lo, v2
	v_and_b32_e32 v74, v74, v2
	v_lshlrev_b32_e32 v2, 29, v3
	v_cmp_gt_i64_e32 vcc, 0, v[1:2]
	v_not_b32_e32 v2, v2
	v_and_b32_e32 v4, exec_hi, v4
	v_ashrrev_i32_e32 v2, 31, v2
	v_and_b32_e32 v4, v4, v75
	v_xor_b32_e32 v75, vcc_hi, v2
	v_xor_b32_e32 v2, vcc_lo, v2
	v_and_b32_e32 v74, v74, v2
	v_lshlrev_b32_e32 v2, 28, v3
	v_cmp_gt_i64_e32 vcc, 0, v[1:2]
	v_not_b32_e32 v2, v2
	v_ashrrev_i32_e32 v2, 31, v2
	v_and_b32_e32 v4, v4, v75
	v_xor_b32_e32 v75, vcc_hi, v2
	v_xor_b32_e32 v2, vcc_lo, v2
	v_and_b32_e32 v74, v74, v2
	v_lshlrev_b32_e32 v2, 27, v3
	v_cmp_gt_i64_e32 vcc, 0, v[1:2]
	v_not_b32_e32 v2, v2
	;; [unrolled: 8-line block ×5, first 2 shown]
	v_ashrrev_i32_e32 v1, 31, v1
	v_xor_b32_e32 v2, vcc_hi, v1
	v_xor_b32_e32 v1, vcc_lo, v1
	ds_read_b32 v73, v29 offset:16
	v_and_b32_e32 v4, v4, v75
	v_and_b32_e32 v1, v74, v1
	;; [unrolled: 1-line block ×3, first 2 shown]
	v_mbcnt_lo_u32_b32 v3, v1, 0
	v_mbcnt_hi_u32_b32 v76, v2, v3
	v_cmp_ne_u64_e32 vcc, 0, v[1:2]
	v_cmp_eq_u32_e64 s[0:1], 0, v76
	s_and_b64 s[2:3], vcc, s[0:1]
	; wave barrier
	s_and_saveexec_b64 s[0:1], s[2:3]
	s_cbranch_execz .LBB25_251
; %bb.250:
	v_bcnt_u32_b32 v1, v1, 0
	v_bcnt_u32_b32 v1, v2, v1
	s_waitcnt lgkmcnt(0)
	v_add_u32_e32 v1, v73, v1
	ds_write_b32 v29, v1 offset:16
.LBB25_251:
	s_or_b64 exec, exec, s[0:1]
	v_xor_b32_e32 v75, 0x80000000, v24
	v_lshrrev_b32_e32 v1, s92, v75
	v_and_b32_e32 v3, s9, v1
	v_mul_lo_u32 v1, v3, 20
	v_and_b32_e32 v2, 1, v3
	v_add_co_u32_e32 v4, vcc, -1, v2
	v_addc_co_u32_e64 v74, s[0:1], 0, -1, vcc
	v_cmp_ne_u32_e32 vcc, 0, v2
	v_xor_b32_e32 v2, vcc_hi, v74
	v_lshl_add_u32 v24, v20, 2, v1
	v_mov_b32_e32 v1, 0
	v_and_b32_e32 v74, exec_hi, v2
	v_lshlrev_b32_e32 v2, 30, v3
	v_xor_b32_e32 v4, vcc_lo, v4
	v_cmp_gt_i64_e32 vcc, 0, v[1:2]
	v_not_b32_e32 v2, v2
	v_ashrrev_i32_e32 v2, 31, v2
	v_and_b32_e32 v4, exec_lo, v4
	v_xor_b32_e32 v78, vcc_hi, v2
	v_xor_b32_e32 v2, vcc_lo, v2
	v_and_b32_e32 v4, v4, v2
	v_lshlrev_b32_e32 v2, 29, v3
	v_cmp_gt_i64_e32 vcc, 0, v[1:2]
	v_not_b32_e32 v2, v2
	v_ashrrev_i32_e32 v2, 31, v2
	v_and_b32_e32 v74, v74, v78
	v_xor_b32_e32 v78, vcc_hi, v2
	v_xor_b32_e32 v2, vcc_lo, v2
	v_and_b32_e32 v4, v4, v2
	v_lshlrev_b32_e32 v2, 28, v3
	v_cmp_gt_i64_e32 vcc, 0, v[1:2]
	v_not_b32_e32 v2, v2
	v_ashrrev_i32_e32 v2, 31, v2
	v_and_b32_e32 v74, v74, v78
	;; [unrolled: 8-line block ×5, first 2 shown]
	v_xor_b32_e32 v78, vcc_hi, v2
	v_xor_b32_e32 v2, vcc_lo, v2
	v_and_b32_e32 v4, v4, v2
	v_lshlrev_b32_e32 v2, 24, v3
	v_cmp_gt_i64_e32 vcc, 0, v[1:2]
	v_not_b32_e32 v2, v2
	v_ashrrev_i32_e32 v2, 31, v2
	v_xor_b32_e32 v3, vcc_hi, v2
	v_xor_b32_e32 v2, vcc_lo, v2
	; wave barrier
	ds_read_b32 v77, v24 offset:16
	v_and_b32_e32 v74, v74, v78
	v_and_b32_e32 v2, v4, v2
	;; [unrolled: 1-line block ×3, first 2 shown]
	v_mbcnt_lo_u32_b32 v4, v2, 0
	v_mbcnt_hi_u32_b32 v79, v3, v4
	v_cmp_ne_u64_e32 vcc, 0, v[2:3]
	v_cmp_eq_u32_e64 s[0:1], 0, v79
	s_and_b64 s[2:3], vcc, s[0:1]
	; wave barrier
	s_and_saveexec_b64 s[0:1], s[2:3]
	s_cbranch_execz .LBB25_253
; %bb.252:
	v_bcnt_u32_b32 v2, v2, 0
	v_bcnt_u32_b32 v2, v3, v2
	s_waitcnt lgkmcnt(0)
	v_add_u32_e32 v2, v77, v2
	ds_write_b32 v24, v2 offset:16
.LBB25_253:
	s_or_b64 exec, exec, s[0:1]
	v_xor_b32_e32 v78, 0x80000000, v18
	v_lshrrev_b32_e32 v2, s92, v78
	v_and_b32_e32 v3, s9, v2
	v_mul_lo_u32 v2, v3, 20
	v_and_b32_e32 v4, 1, v3
	; wave barrier
	v_lshl_add_u32 v18, v20, 2, v2
	v_add_co_u32_e32 v2, vcc, -1, v4
	v_addc_co_u32_e64 v20, s[0:1], 0, -1, vcc
	v_cmp_ne_u32_e32 vcc, 0, v4
	v_xor_b32_e32 v2, vcc_lo, v2
	v_xor_b32_e32 v4, vcc_hi, v20
	v_and_b32_e32 v20, exec_lo, v2
	v_lshlrev_b32_e32 v2, 30, v3
	v_cmp_gt_i64_e32 vcc, 0, v[1:2]
	v_not_b32_e32 v2, v2
	v_ashrrev_i32_e32 v2, 31, v2
	v_xor_b32_e32 v74, vcc_hi, v2
	v_xor_b32_e32 v2, vcc_lo, v2
	v_and_b32_e32 v20, v20, v2
	v_lshlrev_b32_e32 v2, 29, v3
	v_cmp_gt_i64_e32 vcc, 0, v[1:2]
	v_not_b32_e32 v2, v2
	v_and_b32_e32 v4, exec_hi, v4
	v_ashrrev_i32_e32 v2, 31, v2
	v_and_b32_e32 v4, v4, v74
	v_xor_b32_e32 v74, vcc_hi, v2
	v_xor_b32_e32 v2, vcc_lo, v2
	v_and_b32_e32 v20, v20, v2
	v_lshlrev_b32_e32 v2, 28, v3
	v_cmp_gt_i64_e32 vcc, 0, v[1:2]
	v_not_b32_e32 v2, v2
	v_ashrrev_i32_e32 v2, 31, v2
	v_and_b32_e32 v4, v4, v74
	v_xor_b32_e32 v74, vcc_hi, v2
	v_xor_b32_e32 v2, vcc_lo, v2
	v_and_b32_e32 v20, v20, v2
	v_lshlrev_b32_e32 v2, 27, v3
	v_cmp_gt_i64_e32 vcc, 0, v[1:2]
	v_not_b32_e32 v2, v2
	;; [unrolled: 8-line block ×5, first 2 shown]
	v_ashrrev_i32_e32 v1, 31, v1
	v_xor_b32_e32 v2, vcc_hi, v1
	v_xor_b32_e32 v1, vcc_lo, v1
	ds_read_b32 v80, v18 offset:16
	v_and_b32_e32 v4, v4, v74
	v_and_b32_e32 v1, v20, v1
	;; [unrolled: 1-line block ×3, first 2 shown]
	v_mbcnt_lo_u32_b32 v3, v1, 0
	v_mbcnt_hi_u32_b32 v81, v2, v3
	v_cmp_ne_u64_e32 vcc, 0, v[1:2]
	v_cmp_eq_u32_e64 s[0:1], 0, v81
	s_and_b64 s[2:3], vcc, s[0:1]
	; wave barrier
	s_and_saveexec_b64 s[0:1], s[2:3]
	s_cbranch_execz .LBB25_255
; %bb.254:
	v_bcnt_u32_b32 v1, v1, 0
	v_bcnt_u32_b32 v1, v2, v1
	s_waitcnt lgkmcnt(0)
	v_add_u32_e32 v1, v80, v1
	ds_write_b32 v18, v1 offset:16
.LBB25_255:
	s_or_b64 exec, exec, s[0:1]
	; wave barrier
	s_waitcnt lgkmcnt(0)
	s_barrier
	ds_read2_b32 v[3:4], v6 offset0:4 offset1:5
	ds_read2_b32 v[1:2], v6 offset0:6 offset1:7
	ds_read_b32 v20, v6 offset:32
	v_min_u32_e32 v9, 0xc0, v9
	v_or_b32_e32 v9, 63, v9
	s_waitcnt lgkmcnt(1)
	v_add3_u32 v74, v4, v3, v1
	s_waitcnt lgkmcnt(0)
	v_add3_u32 v20, v74, v2, v20
	v_and_b32_e32 v74, 15, v8
	v_cmp_ne_u32_e32 vcc, 0, v74
	v_mov_b32_dpp v82, v20 row_shr:1 row_mask:0xf bank_mask:0xf
	v_cndmask_b32_e32 v82, 0, v82, vcc
	v_add_u32_e32 v20, v82, v20
	v_cmp_lt_u32_e32 vcc, 1, v74
	s_nop 0
	v_mov_b32_dpp v82, v20 row_shr:2 row_mask:0xf bank_mask:0xf
	v_cndmask_b32_e32 v82, 0, v82, vcc
	v_add_u32_e32 v20, v20, v82
	v_cmp_lt_u32_e32 vcc, 3, v74
	s_nop 0
	;; [unrolled: 5-line block ×3, first 2 shown]
	v_mov_b32_dpp v82, v20 row_shr:8 row_mask:0xf bank_mask:0xf
	v_cndmask_b32_e32 v74, 0, v82, vcc
	v_add_u32_e32 v20, v20, v74
	v_bfe_i32 v82, v8, 4, 1
	v_cmp_lt_u32_e32 vcc, 31, v8
	v_mov_b32_dpp v74, v20 row_bcast:15 row_mask:0xf bank_mask:0xf
	v_and_b32_e32 v74, v82, v74
	v_add_u32_e32 v20, v20, v74
	v_lshrrev_b32_e32 v82, 6, v0
	s_nop 0
	v_mov_b32_dpp v74, v20 row_bcast:31 row_mask:0xf bank_mask:0xf
	v_cndmask_b32_e32 v74, 0, v74, vcc
	v_add_u32_e32 v20, v20, v74
	v_cmp_eq_u32_e32 vcc, v0, v9
	s_and_saveexec_b64 s[0:1], vcc
; %bb.256:
	v_lshlrev_b32_e32 v9, 2, v82
	ds_write_b32 v9, v20
; %bb.257:
	s_or_b64 exec, exec, s[0:1]
	v_cmp_gt_u32_e32 vcc, 4, v0
	v_lshlrev_b32_e32 v74, 2, v0
	s_waitcnt lgkmcnt(0)
	s_barrier
	s_and_saveexec_b64 s[0:1], vcc
	s_cbranch_execz .LBB25_259
; %bb.258:
	ds_read_b32 v9, v74
	v_and_b32_e32 v83, 3, v8
	v_cmp_ne_u32_e32 vcc, 0, v83
	s_waitcnt lgkmcnt(0)
	v_mov_b32_dpp v84, v9 row_shr:1 row_mask:0xf bank_mask:0xf
	v_cndmask_b32_e32 v84, 0, v84, vcc
	v_add_u32_e32 v9, v84, v9
	v_cmp_lt_u32_e32 vcc, 1, v83
	s_nop 0
	v_mov_b32_dpp v84, v9 row_shr:2 row_mask:0xf bank_mask:0xf
	v_cndmask_b32_e32 v83, 0, v84, vcc
	v_add_u32_e32 v9, v9, v83
	ds_write_b32 v74, v9
.LBB25_259:
	s_or_b64 exec, exec, s[0:1]
	v_cmp_lt_u32_e32 vcc, 63, v0
	v_mov_b32_e32 v9, 0
	s_waitcnt lgkmcnt(0)
	s_barrier
	s_and_saveexec_b64 s[0:1], vcc
; %bb.260:
	v_lshl_add_u32 v9, v82, 2, -4
	ds_read_b32 v9, v9
; %bb.261:
	s_or_b64 exec, exec, s[0:1]
	v_add_u32_e32 v82, -1, v8
	v_and_b32_e32 v83, 64, v8
	v_cmp_lt_i32_e32 vcc, v82, v83
	v_cndmask_b32_e32 v82, v82, v8, vcc
	s_waitcnt lgkmcnt(0)
	v_add_u32_e32 v20, v9, v20
	v_lshlrev_b32_e32 v82, 2, v82
	ds_bpermute_b32 v20, v82, v20
	v_cmp_eq_u32_e32 vcc, 0, v8
	s_movk_i32 s0, 0x100
	s_waitcnt lgkmcnt(0)
	v_cndmask_b32_e32 v9, v20, v9, vcc
	v_cmp_ne_u32_e32 vcc, 0, v0
	v_cndmask_b32_e32 v9, 0, v9, vcc
	v_add_u32_e32 v3, v9, v3
	v_add_u32_e32 v4, v3, v4
	;; [unrolled: 1-line block ×4, first 2 shown]
	ds_write2_b32 v6, v9, v3 offset0:4 offset1:5
	ds_write2_b32 v6, v4, v1 offset0:6 offset1:7
	ds_write_b32 v6, v2 offset:32
	s_waitcnt lgkmcnt(0)
	s_barrier
	ds_read_b32 v2, v45 offset:16
	ds_read_b32 v3, v50 offset:16
	;; [unrolled: 1-line block ×19, first 2 shown]
	v_add_u32_e32 v6, 1, v0
	v_cmp_ne_u32_e32 vcc, s0, v6
	v_mov_b32_e32 v1, 0x1200
	s_and_saveexec_b64 s[0:1], vcc
; %bb.262:
	v_mul_u32_u24_e32 v1, 20, v6
	ds_read_b32 v1, v1 offset:16
; %bb.263:
	s_or_b64 exec, exec, s[0:1]
	s_waitcnt lgkmcnt(7)
	v_add_u32_e32 v35, v10, v12
	s_waitcnt lgkmcnt(6)
	v_add3_u32 v34, v16, v13, v14
	s_waitcnt lgkmcnt(3)
	v_add3_u32 v28, v32, v28, v24
	v_add3_u32 v24, v47, v43, v2
	v_lshlrev_b32_e32 v2, 2, v35
	v_add3_u32 v30, v22, v17, v18
	s_waitcnt lgkmcnt(0)
	s_barrier
	ds_write_b32 v2, v5 offset:2048
	v_lshlrev_b32_e32 v2, 2, v34
	v_add3_u32 v29, v27, v23, v19
	ds_write_b32 v2, v11 offset:2048
	v_lshlrev_b32_e32 v2, 2, v30
	ds_write_b32 v2, v15 offset:2048
	v_lshlrev_b32_e32 v2, 2, v29
	v_add3_u32 v27, v37, v33, v25
	ds_write_b32 v2, v21 offset:2048
	v_lshlrev_b32_e32 v2, 2, v28
	v_add3_u32 v25, v42, v38, v40
	ds_write_b32 v2, v26 offset:2048
	v_lshlrev_b32_e32 v2, 2, v27
	ds_write_b32 v2, v31 offset:2048
	v_lshlrev_b32_e32 v2, 2, v25
	v_add3_u32 v23, v52, v48, v3
	ds_write_b32 v2, v36 offset:2048
	v_lshlrev_b32_e32 v2, 2, v24
	v_add3_u32 v22, v56, v53, v4
	;; [unrolled: 3-line block ×10, first 2 shown]
	ds_write_b32 v2, v71 offset:2048
	v_lshlrev_b32_e32 v2, 2, v13
	ds_write_b32 v2, v75 offset:2048
	v_lshlrev_b32_e32 v2, 2, v12
	ds_write_b32 v2, v78 offset:2048
	v_sub_u32_e32 v10, v1, v9
	v_lshl_or_b32 v1, s6, 8, v0
	v_mov_b32_e32 v2, 0
	v_lshlrev_b64 v[3:4], 2, v[1:2]
	v_mov_b32_e32 v15, s89
	v_add_co_u32_e32 v3, vcc, s88, v3
	v_addc_co_u32_e32 v4, vcc, v15, v4, vcc
	v_or_b32_e32 v1, 2.0, v10
	s_mov_b64 s[0:1], 0
	s_brev_b32 s10, -4
	v_mov_b32_e32 v11, 0
	s_waitcnt lgkmcnt(0)
	s_barrier
	global_store_dword v[3:4], v1, off
                                        ; implicit-def: $sgpr2_sgpr3
	s_branch .LBB25_266
.LBB25_264:                             ;   in Loop: Header=BB25_266 Depth=1
	s_or_b64 exec, exec, s[4:5]
.LBB25_265:                             ;   in Loop: Header=BB25_266 Depth=1
	s_or_b64 exec, exec, s[2:3]
	v_and_b32_e32 v5, 0x3fffffff, v1
	v_add_u32_e32 v11, v5, v11
	v_cmp_gt_i32_e64 s[2:3], -2.0, v1
	s_and_b64 s[4:5], exec, s[2:3]
	s_or_b64 s[0:1], s[4:5], s[0:1]
	s_andn2_b64 exec, exec, s[0:1]
	s_cbranch_execz .LBB25_271
.LBB25_266:                             ; =>This Loop Header: Depth=1
                                        ;     Child Loop BB25_269 Depth 2
	s_or_b64 s[2:3], s[2:3], exec
	s_cmp_eq_u32 s7, 0
	s_cbranch_scc1 .LBB25_270
; %bb.267:                              ;   in Loop: Header=BB25_266 Depth=1
	s_add_i32 s7, s7, -1
	v_lshl_or_b32 v1, s7, 8, v0
	v_lshlrev_b64 v[5:6], 2, v[1:2]
	v_add_co_u32_e32 v5, vcc, s88, v5
	v_addc_co_u32_e32 v6, vcc, v15, v6, vcc
	global_load_dword v1, v[5:6], off glc
	s_waitcnt vmcnt(0)
	v_cmp_gt_u32_e32 vcc, 2.0, v1
	s_and_saveexec_b64 s[2:3], vcc
	s_cbranch_execz .LBB25_265
; %bb.268:                              ;   in Loop: Header=BB25_266 Depth=1
	s_mov_b64 s[4:5], 0
.LBB25_269:                             ;   Parent Loop BB25_266 Depth=1
                                        ; =>  This Inner Loop Header: Depth=2
	global_load_dword v1, v[5:6], off glc
	s_waitcnt vmcnt(0)
	v_cmp_lt_u32_e32 vcc, s10, v1
	s_or_b64 s[4:5], vcc, s[4:5]
	s_andn2_b64 exec, exec, s[4:5]
	s_cbranch_execnz .LBB25_269
	s_branch .LBB25_264
.LBB25_270:                             ;   in Loop: Header=BB25_266 Depth=1
                                        ; implicit-def: $sgpr7
	s_and_b64 s[4:5], exec, s[2:3]
	s_or_b64 s[0:1], s[4:5], s[0:1]
	s_andn2_b64 exec, exec, s[0:1]
	s_cbranch_execnz .LBB25_266
.LBB25_271:
	s_or_b64 exec, exec, s[0:1]
	v_add_u32_e32 v2, v11, v10
	v_or_b32_e32 v2, 0x80000000, v2
	v_readlane_b32 s0, v88, 0
	v_lshlrev_b32_e32 v1, 3, v0
	global_store_dword v[3:4], v2, off
	v_readlane_b32 s1, v88, 1
	v_sub_co_u32_e32 v4, vcc, v11, v9
	v_sub_u32_e32 v51, v1, v74
	v_mov_b32_e32 v6, s83
	v_mov_b32_e32 v11, s83
	s_nop 0
	global_load_dwordx2 v[2:3], v1, s[0:1]
	v_subb_co_u32_e64 v5, s[0:1], 0, 0, vcc
	v_mov_b32_e32 v15, s83
	v_mov_b32_e32 v21, s83
	;; [unrolled: 1-line block ×3, first 2 shown]
	s_lshl_b64 s[0:1], s[78:79], 1
	s_add_u32 s0, s84, s0
	s_addc_u32 s1, s85, s1
	v_lshlrev_b32_e32 v8, 1, v8
	v_lshlrev_b32_e32 v7, 1, v7
	v_or_b32_e32 v62, 0xf00, v0
	v_lshlrev_b32_e32 v70, 2, v62
	v_mov_b32_e32 v73, s83
	s_add_i32 s8, s8, -1
	v_readlane_b32 s2, v88, 2
	v_readlane_b32 s3, v88, 3
	s_cmp_lg_u32 s6, s8
	s_waitcnt vmcnt(0)
	v_add_co_u32_e32 v2, vcc, v4, v2
	v_addc_co_u32_e32 v3, vcc, v5, v3, vcc
	ds_write_b64 v1, v[2:3]
	s_waitcnt lgkmcnt(0)
	s_barrier
	ds_read2st64_b32 v[2:3], v51 offset0:8 offset1:12
	ds_read2st64_b32 v[4:5], v51 offset0:16 offset1:20
	;; [unrolled: 1-line block ×4, first 2 shown]
	s_waitcnt lgkmcnt(2)
	v_xor_b32_e32 v49, 0x80000000, v4
	v_lshrrev_b32_e32 v26, s92, v2
	v_xor_b32_e32 v33, 0x80000000, v2
	v_lshrrev_b32_e32 v2, s92, v3
	;; [unrolled: 2-line block ×3, first 2 shown]
	v_lshrrev_b32_e32 v4, s92, v5
	v_xor_b32_e32 v50, 0x80000000, v5
	s_waitcnt lgkmcnt(1)
	v_lshrrev_b32_e32 v5, s92, v31
	v_lshrrev_b32_e32 v38, s92, v32
	s_waitcnt lgkmcnt(0)
	v_lshrrev_b32_e32 v39, s92, v36
	v_lshrrev_b32_e32 v40, s92, v37
	v_and_b32_e32 v26, s9, v26
	v_and_b32_e32 v2, s9, v2
	;; [unrolled: 1-line block ×8, first 2 shown]
	v_lshlrev_b32_e32 v52, 3, v26
	v_lshlrev_b32_e32 v53, 3, v2
	;; [unrolled: 1-line block ×8, first 2 shown]
	ds_read_b64 v[38:39], v52
	ds_read_b64 v[40:41], v53
	;; [unrolled: 1-line block ×5, first 2 shown]
	s_waitcnt lgkmcnt(4)
	v_lshlrev_b64 v[38:39], 2, v[38:39]
	s_waitcnt lgkmcnt(3)
	v_lshlrev_b64 v[40:41], 2, v[40:41]
	v_add_co_u32_e32 v26, vcc, s82, v38
	v_addc_co_u32_e32 v6, vcc, v6, v39, vcc
	s_waitcnt lgkmcnt(2)
	v_lshlrev_b64 v[42:43], 2, v[42:43]
	v_add_co_u32_e32 v40, vcc, s82, v40
	v_addc_co_u32_e32 v11, vcc, v11, v41, vcc
	;; [unrolled: 4-line block ×3, first 2 shown]
	v_add_co_u32_e32 v44, vcc, s82, v44
	v_addc_co_u32_e32 v21, vcc, v21, v45, vcc
	v_add_co_u32_e32 v38, vcc, v26, v74
	v_addc_co_u32_e32 v39, vcc, 0, v6, vcc
	;; [unrolled: 2-line block ×5, first 2 shown]
	global_store_dword v[38:39], v33, off
	global_store_dword v[40:41], v48, off offset:1024
	global_store_dword v[42:43], v49, off offset:2048
	;; [unrolled: 1-line block ×3, first 2 shown]
	s_waitcnt lgkmcnt(0)
	v_lshlrev_b64 v[44:45], 2, v[46:47]
	v_mov_b32_e32 v6, s83
	v_add_co_u32_e32 v11, vcc, s82, v44
	ds_read_b64 v[38:39], v2
	ds_read_b64 v[40:41], v3
	;; [unrolled: 1-line block ×3, first 2 shown]
	v_addc_co_u32_e32 v6, vcc, v6, v45, vcc
	v_or_b32_e32 v15, 0x1000, v74
	v_add_co_u32_e32 v44, vcc, v11, v15
	v_xor_b32_e32 v31, 0x80000000, v31
	v_addc_co_u32_e32 v45, vcc, 0, v6, vcc
	global_store_dword v[44:45], v31, off
	v_xor_b32_e32 v6, 0x80000000, v32
	s_waitcnt lgkmcnt(2)
	v_lshlrev_b64 v[31:32], 2, v[38:39]
	v_mov_b32_e32 v11, s83
	v_add_co_u32_e32 v15, vcc, s82, v31
	v_addc_co_u32_e32 v11, vcc, v11, v32, vcc
	v_or_b32_e32 v21, 0x1400, v74
	v_add_co_u32_e32 v31, vcc, v15, v21
	v_addc_co_u32_e32 v32, vcc, 0, v11, vcc
	global_store_dword v[31:32], v6, off
	s_waitcnt lgkmcnt(1)
	v_lshlrev_b64 v[31:32], 2, v[40:41]
	v_mov_b32_e32 v11, s83
	v_add_co_u32_e32 v15, vcc, s82, v31
	v_addc_co_u32_e32 v11, vcc, v11, v32, vcc
	v_or_b32_e32 v21, 0x1800, v74
	v_add_co_u32_e32 v31, vcc, v15, v21
	v_xor_b32_e32 v6, 0x80000000, v36
	v_addc_co_u32_e32 v32, vcc, 0, v11, vcc
	global_store_dword v[31:32], v6, off
	s_waitcnt lgkmcnt(0)
	v_lshlrev_b64 v[31:32], 2, v[42:43]
	v_mov_b32_e32 v11, s83
	v_add_co_u32_e32 v15, vcc, s82, v31
	v_addc_co_u32_e32 v11, vcc, v11, v32, vcc
	ds_read2st64_b32 v[32:33], v51 offset0:40 offset1:44
	v_or_b32_e32 v21, 0x1c00, v74
	v_add_co_u32_e32 v36, vcc, v15, v21
	v_xor_b32_e32 v6, 0x80000000, v37
	v_addc_co_u32_e32 v37, vcc, 0, v11, vcc
	s_waitcnt lgkmcnt(0)
	v_lshrrev_b32_e32 v11, s92, v32
	global_store_dword v[36:37], v6, off
	v_and_b32_e32 v11, s9, v11
	v_lshlrev_b32_e32 v11, 3, v11
	ds_read2st64_b32 v[36:37], v51 offset0:48 offset1:52
	ds_read_b64 v[38:39], v11
	v_lshrrev_b32_e32 v15, s92, v33
	v_and_b32_e32 v15, s9, v15
	v_or_b32_e32 v6, 0x800, v0
	s_waitcnt lgkmcnt(1)
	v_lshrrev_b32_e32 v31, s92, v37
	s_waitcnt lgkmcnt(0)
	v_lshlrev_b64 v[38:39], 2, v[38:39]
	v_lshrrev_b32_e32 v21, s92, v36
	v_and_b32_e32 v31, s9, v31
	v_xor_b32_e32 v26, 0x80000000, v32
	v_lshlrev_b32_e32 v15, 3, v15
	v_and_b32_e32 v21, s9, v21
	v_lshlrev_b32_e32 v32, 3, v31
	v_mov_b32_e32 v31, s83
	v_add_co_u32_e32 v38, vcc, s82, v38
	v_lshlrev_b32_e32 v21, 3, v21
	ds_read_b64 v[40:41], v15
	ds_read_b64 v[42:43], v21
	;; [unrolled: 1-line block ×3, first 2 shown]
	v_addc_co_u32_e32 v31, vcc, v31, v39, vcc
	v_lshlrev_b32_e32 v39, 2, v6
	v_add_co_u32_e32 v38, vcc, v38, v39
	v_addc_co_u32_e32 v39, vcc, 0, v31, vcc
	global_store_dword v[38:39], v26, off
	s_waitcnt lgkmcnt(2)
	v_lshlrev_b64 v[38:39], 2, v[40:41]
	v_or_b32_e32 v31, 0x900, v0
	v_xor_b32_e32 v26, 0x80000000, v33
	v_mov_b32_e32 v33, s83
	v_add_co_u32_e32 v38, vcc, s82, v38
	v_addc_co_u32_e32 v33, vcc, v33, v39, vcc
	v_lshlrev_b32_e32 v39, 2, v31
	v_add_co_u32_e32 v38, vcc, v38, v39
	v_addc_co_u32_e32 v39, vcc, 0, v33, vcc
	global_store_dword v[38:39], v26, off
	s_waitcnt lgkmcnt(1)
	v_lshlrev_b64 v[38:39], 2, v[42:43]
	v_or_b32_e32 v33, 0xa00, v0
	v_xor_b32_e32 v26, 0x80000000, v36
	v_mov_b32_e32 v36, s83
	v_add_co_u32_e32 v38, vcc, s82, v38
	v_addc_co_u32_e32 v36, vcc, v36, v39, vcc
	v_lshlrev_b32_e32 v39, 2, v33
	v_add_co_u32_e32 v38, vcc, v38, v39
	v_addc_co_u32_e32 v39, vcc, 0, v36, vcc
	global_store_dword v[38:39], v26, off
	v_xor_b32_e32 v38, 0x80000000, v37
	s_waitcnt lgkmcnt(0)
	v_lshlrev_b64 v[36:37], 2, v[44:45]
	v_mov_b32_e32 v39, s83
	v_add_co_u32_e32 v36, vcc, s82, v36
	v_addc_co_u32_e32 v37, vcc, v39, v37, vcc
	ds_read2st64_b32 v[39:40], v51 offset0:56 offset1:60
	v_or_b32_e32 v26, 0xb00, v0
	v_lshlrev_b32_e32 v41, 2, v26
	v_add_co_u32_e32 v36, vcc, v36, v41
	v_addc_co_u32_e32 v37, vcc, 0, v37, vcc
	global_store_dword v[36:37], v38, off
	s_waitcnt lgkmcnt(0)
	v_lshrrev_b32_e32 v37, s92, v39
	v_and_b32_e32 v37, s9, v37
	v_lshlrev_b32_e32 v37, 3, v37
	ds_read2st64_b32 v[41:42], v51 offset0:64 offset1:68
	ds_read_b64 v[43:44], v37
	v_lshrrev_b32_e32 v38, s92, v40
	v_xor_b32_e32 v56, 0x80000000, v39
	v_and_b32_e32 v38, s9, v38
	s_waitcnt lgkmcnt(1)
	v_lshrrev_b32_e32 v39, s92, v41
	s_waitcnt lgkmcnt(0)
	v_lshlrev_b64 v[43:44], 2, v[43:44]
	v_lshrrev_b32_e32 v45, s92, v42
	v_or_b32_e32 v36, 0xc00, v0
	v_lshlrev_b32_e32 v38, 3, v38
	v_and_b32_e32 v39, s9, v39
	v_and_b32_e32 v45, s9, v45
	v_add_co_u32_e32 v43, vcc, s82, v43
	v_lshlrev_b32_e32 v39, 3, v39
	v_lshlrev_b32_e32 v57, 3, v45
	ds_read_b64 v[45:46], v38
	ds_read_b64 v[47:48], v39
	;; [unrolled: 1-line block ×3, first 2 shown]
	v_addc_co_u32_e32 v44, vcc, v58, v44, vcc
	v_lshlrev_b32_e32 v58, 2, v36
	v_add_co_u32_e32 v43, vcc, v43, v58
	v_addc_co_u32_e32 v44, vcc, 0, v44, vcc
	global_store_dword v[43:44], v56, off
	s_waitcnt lgkmcnt(2)
	v_lshlrev_b64 v[43:44], 2, v[45:46]
	v_or_b32_e32 v56, 0xd00, v0
	v_mov_b32_e32 v45, s83
	v_add_co_u32_e32 v43, vcc, s82, v43
	v_addc_co_u32_e32 v44, vcc, v45, v44, vcc
	v_lshlrev_b32_e32 v45, 2, v56
	v_add_co_u32_e32 v43, vcc, v43, v45
	v_addc_co_u32_e32 v44, vcc, 0, v44, vcc
	v_mov_b32_e32 v46, s1
	v_add_co_u32_e32 v8, vcc, s0, v8
	v_xor_b32_e32 v40, 0x80000000, v40
	v_addc_co_u32_e32 v46, vcc, 0, v46, vcc
	global_store_dword v[43:44], v40, off
	v_xor_b32_e32 v43, 0x80000000, v41
	s_waitcnt lgkmcnt(1)
	v_lshlrev_b64 v[40:41], 2, v[47:48]
	v_add_co_u32_e32 v7, vcc, v8, v7
	v_addc_co_u32_e32 v8, vcc, 0, v46, vcc
	v_mov_b32_e32 v45, s83
	global_load_ushort v46, v[7:8], off
	v_add_co_u32_e32 v40, vcc, s82, v40
	v_addc_co_u32_e32 v41, vcc, v45, v41, vcc
	global_load_ushort v45, v[7:8], off offset:128
	v_or_b32_e32 v44, 0xe00, v0
	v_lshlrev_b32_e32 v47, 2, v44
	global_load_ushort v48, v[7:8], off offset:256
	global_load_ushort v58, v[7:8], off offset:384
	;; [unrolled: 1-line block ×4, first 2 shown]
	v_add_co_u32_e32 v40, vcc, v40, v47
	global_load_ushort v47, v[7:8], off offset:768
	global_load_ushort v61, v[7:8], off offset:896
	;; [unrolled: 1-line block ×4, first 2 shown]
	v_addc_co_u32_e32 v41, vcc, 0, v41, vcc
	global_store_dword v[40:41], v43, off
	s_waitcnt lgkmcnt(0)
	v_lshlrev_b64 v[40:41], 2, v[49:50]
	global_load_ushort v49, v[7:8], off offset:1280
	global_load_ushort v50, v[7:8], off offset:1408
	;; [unrolled: 1-line block ×7, first 2 shown]
	v_mov_b32_e32 v43, s83
	v_add_co_u32_e32 v68, vcc, s82, v40
	v_addc_co_u32_e32 v43, vcc, v43, v41, vcc
	ds_read2st64_b32 v[40:41], v51 offset0:72 offset1:76
	global_load_ushort v51, v[7:8], off offset:2176
	v_add_co_u32_e32 v7, vcc, v68, v70
	v_xor_b32_e32 v42, 0x80000000, v42
	v_addc_co_u32_e32 v8, vcc, 0, v43, vcc
	global_store_dword v[7:8], v42, off
	s_waitcnt lgkmcnt(0)
	v_lshrrev_b32_e32 v7, s92, v40
	v_and_b32_e32 v7, s9, v7
	v_lshlrev_b32_e32 v70, 3, v7
	ds_read_b64 v[7:8], v70
	v_lshrrev_b32_e32 v42, s92, v41
	v_and_b32_e32 v42, s9, v42
	v_lshlrev_b32_e32 v72, 3, v42
	ds_read_b64 v[42:43], v72
	s_waitcnt lgkmcnt(1)
	v_lshlrev_b64 v[7:8], 2, v[7:8]
	v_or_b32_e32 v68, 0x1000, v0
	v_add_co_u32_e32 v7, vcc, s82, v7
	v_addc_co_u32_e32 v8, vcc, v73, v8, vcc
	v_lshlrev_b32_e32 v73, 2, v68
	v_add_co_u32_e32 v7, vcc, v7, v73
	v_xor_b32_e32 v40, 0x80000000, v40
	v_addc_co_u32_e32 v8, vcc, 0, v8, vcc
	global_store_dword v[7:8], v40, off
	s_waitcnt lgkmcnt(0)
	v_lshlrev_b64 v[7:8], 2, v[42:43]
	v_or_b32_e32 v40, 0x1100, v0
	v_mov_b32_e32 v42, s83
	v_add_co_u32_e32 v7, vcc, s82, v7
	v_addc_co_u32_e32 v8, vcc, v42, v8, vcc
	v_lshlrev_b32_e32 v42, 2, v40
	v_add_co_u32_e32 v7, vcc, v7, v42
	v_xor_b32_e32 v41, 0x80000000, v41
	v_addc_co_u32_e32 v8, vcc, 0, v8, vcc
	global_store_dword v[7:8], v41, off
	v_lshlrev_b32_e32 v7, 1, v35
	s_waitcnt vmcnt(0)
	s_barrier
	v_lshlrev_b32_e32 v0, 1, v0
	v_lshlrev_b32_e32 v6, 1, v6
	ds_write_b16 v7, v46 offset:2048
	v_lshlrev_b32_e32 v7, 1, v34
	ds_write_b16 v7, v45 offset:2048
	;; [unrolled: 2-line block ×18, first 2 shown]
	s_waitcnt lgkmcnt(0)
	s_barrier
	ds_read_b64 v[7:8], v52
	ds_read_u16 v14, v0 offset:2048
	ds_read_b64 v[12:13], v53
	ds_read_b64 v[16:17], v54
	;; [unrolled: 1-line block ×3, first 2 shown]
	s_waitcnt lgkmcnt(4)
	v_lshlrev_b64 v[7:8], 1, v[7:8]
	v_mov_b32_e32 v20, s87
	v_add_co_u32_e32 v7, vcc, s86, v7
	v_addc_co_u32_e32 v8, vcc, v20, v8, vcc
	v_add_co_u32_e32 v7, vcc, v7, v0
	v_addc_co_u32_e32 v8, vcc, 0, v8, vcc
	ds_read_u16 v20, v0 offset:2560
	ds_read_b64 v[22:23], v70
	ds_read_b64 v[24:25], v72
	s_waitcnt lgkmcnt(6)
	global_store_short v[7:8], v14, off
	s_waitcnt lgkmcnt(5)
	v_lshlrev_b64 v[7:8], 1, v[12:13]
	v_mov_b32_e32 v12, s87
	v_add_co_u32_e32 v7, vcc, s86, v7
	v_addc_co_u32_e32 v8, vcc, v12, v8, vcc
	v_add_co_u32_e32 v7, vcc, v7, v0
	v_addc_co_u32_e32 v8, vcc, 0, v8, vcc
	s_waitcnt lgkmcnt(2)
	global_store_short v[7:8], v20, off offset:512
	v_lshlrev_b64 v[7:8], 1, v[16:17]
	v_add_co_u32_e32 v7, vcc, s86, v7
	v_addc_co_u32_e32 v8, vcc, v12, v8, vcc
	v_add_co_u32_e32 v7, vcc, v7, v0
	v_addc_co_u32_e32 v8, vcc, 0, v8, vcc
	ds_read_u16 v12, v0 offset:3072
	ds_read_u16 v14, v0 offset:3584
	;; [unrolled: 1-line block ×8, first 2 shown]
	s_waitcnt lgkmcnt(7)
	global_store_short v[7:8], v12, off offset:1024
	v_lshlrev_b64 v[7:8], 1, v[18:19]
	v_mov_b32_e32 v12, s87
	v_add_co_u32_e32 v7, vcc, s86, v7
	v_addc_co_u32_e32 v8, vcc, v12, v8, vcc
	ds_read_b64 v[12:13], v4
	v_add_co_u32_e32 v7, vcc, v7, v0
	v_addc_co_u32_e32 v8, vcc, 0, v8, vcc
	s_waitcnt lgkmcnt(7)
	global_store_short v[7:8], v14, off offset:1536
	s_waitcnt lgkmcnt(0)
	v_lshlrev_b64 v[12:13], 1, v[12:13]
	ds_read_b64 v[7:8], v2
	ds_read_b64 v[2:3], v3
	;; [unrolled: 1-line block ×3, first 2 shown]
	v_mov_b32_e32 v14, s87
	v_add_co_u32_e32 v12, vcc, s86, v12
	v_addc_co_u32_e32 v13, vcc, v14, v13, vcc
	v_add_co_u32_e32 v12, vcc, v12, v0
	s_waitcnt lgkmcnt(2)
	v_lshlrev_b64 v[7:8], 1, v[7:8]
	v_addc_co_u32_e32 v13, vcc, 0, v13, vcc
	global_store_short v[12:13], v16, off offset:2048
	v_mov_b32_e32 v12, s87
	v_add_co_u32_e32 v7, vcc, s86, v7
	v_addc_co_u32_e32 v8, vcc, v12, v8, vcc
	v_add_co_u32_e32 v7, vcc, v7, v0
	s_waitcnt lgkmcnt(1)
	v_lshlrev_b64 v[2:3], 1, v[2:3]
	v_addc_co_u32_e32 v8, vcc, 0, v8, vcc
	global_store_short v[7:8], v17, off offset:2560
	v_mov_b32_e32 v7, s87
	v_add_co_u32_e32 v2, vcc, s86, v2
	v_addc_co_u32_e32 v3, vcc, v7, v3, vcc
	v_add_co_u32_e32 v2, vcc, v2, v0
	v_addc_co_u32_e32 v3, vcc, 0, v3, vcc
	global_store_short v[2:3], v20, off offset:3072
	s_waitcnt lgkmcnt(0)
	v_lshlrev_b64 v[2:3], 1, v[4:5]
	v_mov_b32_e32 v4, s87
	v_add_co_u32_e32 v2, vcc, s86, v2
	v_addc_co_u32_e32 v3, vcc, v4, v3, vcc
	ds_read_b64 v[4:5], v11
	v_add_co_u32_e32 v2, vcc, v2, v0
	v_addc_co_u32_e32 v3, vcc, 0, v3, vcc
	global_store_short v[2:3], v27, off offset:3584
	s_waitcnt lgkmcnt(0)
	v_lshlrev_b64 v[4:5], 1, v[4:5]
	ds_read_b64 v[2:3], v15
	ds_read_b64 v[7:8], v21
	;; [unrolled: 1-line block ×3, first 2 shown]
	v_mov_b32_e32 v13, s87
	v_add_co_u32_e32 v4, vcc, s86, v4
	v_addc_co_u32_e32 v5, vcc, v13, v5, vcc
	v_add_co_u32_e32 v4, vcc, v4, v6
	s_waitcnt lgkmcnt(2)
	v_lshlrev_b64 v[2:3], 1, v[2:3]
	v_addc_co_u32_e32 v5, vcc, 0, v5, vcc
	global_store_short v[4:5], v28, off
	v_mov_b32_e32 v4, s87
	v_add_co_u32_e32 v2, vcc, s86, v2
	v_addc_co_u32_e32 v3, vcc, v4, v3, vcc
	v_lshlrev_b32_e32 v4, 1, v31
	v_add_co_u32_e32 v2, vcc, v2, v4
	v_addc_co_u32_e32 v3, vcc, 0, v3, vcc
	global_store_short v[2:3], v29, off
	s_waitcnt lgkmcnt(1)
	v_lshlrev_b64 v[2:3], 1, v[7:8]
	v_mov_b32_e32 v4, s87
	v_add_co_u32_e32 v2, vcc, s86, v2
	v_addc_co_u32_e32 v3, vcc, v4, v3, vcc
	v_lshlrev_b32_e32 v4, 1, v33
	v_add_co_u32_e32 v2, vcc, v2, v4
	v_addc_co_u32_e32 v3, vcc, 0, v3, vcc
	ds_read_u16 v4, v0 offset:7168
	ds_read_u16 v6, v0 offset:7680
	;; [unrolled: 1-line block ×8, first 2 shown]
	s_waitcnt lgkmcnt(7)
	global_store_short v[2:3], v4, off
	v_lshlrev_b64 v[2:3], 1, v[11:12]
	v_mov_b32_e32 v4, s87
	v_add_co_u32_e32 v2, vcc, s86, v2
	v_addc_co_u32_e32 v3, vcc, v4, v3, vcc
	v_lshlrev_b32_e32 v4, 1, v26
	v_add_co_u32_e32 v2, vcc, v2, v4
	ds_read_b64 v[4:5], v37
	v_addc_co_u32_e32 v3, vcc, 0, v3, vcc
	s_waitcnt lgkmcnt(7)
	global_store_short v[2:3], v6, off
	ds_read_b64 v[2:3], v38
	ds_read_b64 v[6:7], v39
	;; [unrolled: 1-line block ×3, first 2 shown]
	s_waitcnt lgkmcnt(3)
	v_lshlrev_b64 v[4:5], 1, v[4:5]
	v_mov_b32_e32 v17, s87
	v_add_co_u32_e32 v4, vcc, s86, v4
	v_addc_co_u32_e32 v5, vcc, v17, v5, vcc
	v_lshlrev_b32_e32 v17, 1, v36
	v_add_co_u32_e32 v4, vcc, v4, v17
	s_waitcnt lgkmcnt(2)
	v_lshlrev_b64 v[2:3], 1, v[2:3]
	v_addc_co_u32_e32 v5, vcc, 0, v5, vcc
	global_store_short v[4:5], v8, off
	v_mov_b32_e32 v4, s87
	v_add_co_u32_e32 v2, vcc, s86, v2
	v_addc_co_u32_e32 v3, vcc, v4, v3, vcc
	v_lshlrev_b32_e32 v4, 1, v56
	v_add_co_u32_e32 v2, vcc, v2, v4
	v_addc_co_u32_e32 v3, vcc, 0, v3, vcc
	global_store_short v[2:3], v13, off
	s_waitcnt lgkmcnt(1)
	v_lshlrev_b64 v[2:3], 1, v[6:7]
	v_mov_b32_e32 v4, s87
	v_add_co_u32_e32 v2, vcc, s86, v2
	v_addc_co_u32_e32 v3, vcc, v4, v3, vcc
	v_lshlrev_b32_e32 v4, 1, v44
	v_add_co_u32_e32 v2, vcc, v2, v4
	v_addc_co_u32_e32 v3, vcc, 0, v3, vcc
	global_store_short v[2:3], v14, off
	s_waitcnt lgkmcnt(0)
	v_lshlrev_b64 v[2:3], 1, v[11:12]
	v_mov_b32_e32 v4, s87
	v_add_co_u32_e32 v2, vcc, s86, v2
	v_addc_co_u32_e32 v3, vcc, v4, v3, vcc
	v_lshlrev_b32_e32 v4, 1, v62
	v_add_co_u32_e32 v2, vcc, v2, v4
	v_addc_co_u32_e32 v3, vcc, 0, v3, vcc
	global_store_short v[2:3], v15, off
	v_lshlrev_b64 v[2:3], 1, v[22:23]
	v_mov_b32_e32 v4, s87
	v_add_co_u32_e32 v2, vcc, s86, v2
	v_addc_co_u32_e32 v3, vcc, v4, v3, vcc
	v_lshlrev_b32_e32 v4, 1, v68
	v_add_co_u32_e32 v2, vcc, v2, v4
	v_addc_co_u32_e32 v3, vcc, 0, v3, vcc
	global_store_short v[2:3], v16, off
	;; [unrolled: 8-line block ×3, first 2 shown]
	s_cbranch_scc1 .LBB25_273
; %bb.272:
	ds_read_b64 v[2:3], v1
	v_add_co_u32_e32 v0, vcc, v10, v9
	v_addc_co_u32_e64 v4, s[0:1], 0, 0, vcc
	s_waitcnt lgkmcnt(0)
	v_add_co_u32_e32 v2, vcc, v0, v2
	v_addc_co_u32_e32 v3, vcc, v4, v3, vcc
	global_store_dwordx2 v1, v[2:3], s[2:3]
.LBB25_273:
	s_endpgm
.LBB25_274:
	s_or_b64 exec, exec, s[0:1]
	s_and_saveexec_b64 s[0:1], s[40:41]
	s_cbranch_execz .LBB25_199
.LBB25_275:
	v_lshlrev_b32_e32 v10, 3, v65
	ds_read_b64 v[10:11], v10
	v_lshlrev_b32_e32 v22, 1, v0
	ds_read_u16 v24, v22 offset:2560
	v_mov_b32_e32 v26, s87
	s_waitcnt lgkmcnt(1)
	v_lshlrev_b64 v[10:11], 1, v[10:11]
	v_add_co_u32_e32 v10, vcc, s86, v10
	v_addc_co_u32_e32 v11, vcc, v26, v11, vcc
	v_add_co_u32_e32 v10, vcc, v10, v22
	v_addc_co_u32_e32 v11, vcc, 0, v11, vcc
	s_waitcnt lgkmcnt(0)
	global_store_short v[10:11], v24, off offset:512
	s_or_b64 exec, exec, s[0:1]
	s_and_saveexec_b64 s[0:1], s[42:43]
	s_cbranch_execnz .LBB25_200
.LBB25_276:
	s_or_b64 exec, exec, s[0:1]
	s_and_saveexec_b64 s[0:1], s[44:45]
	s_cbranch_execz .LBB25_201
.LBB25_277:
	v_lshlrev_b32_e32 v10, 3, v61
	ds_read_b64 v[10:11], v10
	v_lshlrev_b32_e32 v22, 1, v0
	ds_read_u16 v24, v22 offset:3584
	v_mov_b32_e32 v26, s87
	s_waitcnt lgkmcnt(1)
	v_lshlrev_b64 v[10:11], 1, v[10:11]
	v_add_co_u32_e32 v10, vcc, s86, v10
	v_addc_co_u32_e32 v11, vcc, v26, v11, vcc
	v_add_co_u32_e32 v10, vcc, v10, v22
	v_addc_co_u32_e32 v11, vcc, 0, v11, vcc
	s_waitcnt lgkmcnt(0)
	global_store_short v[10:11], v24, off offset:1536
	s_or_b64 exec, exec, s[0:1]
	s_and_saveexec_b64 s[0:1], s[46:47]
	s_cbranch_execnz .LBB25_202
.LBB25_278:
	s_or_b64 exec, exec, s[0:1]
	s_and_saveexec_b64 s[0:1], s[48:49]
	s_cbranch_execz .LBB25_203
.LBB25_279:
	v_lshlrev_b32_e32 v10, 3, v58
	ds_read_b64 v[10:11], v10
	v_lshlrev_b32_e32 v22, 1, v0
	ds_read_u16 v24, v22 offset:4608
	v_mov_b32_e32 v26, s87
	s_waitcnt lgkmcnt(1)
	v_lshlrev_b64 v[10:11], 1, v[10:11]
	v_add_co_u32_e32 v10, vcc, s86, v10
	v_addc_co_u32_e32 v11, vcc, v26, v11, vcc
	v_add_co_u32_e32 v10, vcc, v10, v22
	v_addc_co_u32_e32 v11, vcc, 0, v11, vcc
	s_waitcnt lgkmcnt(0)
	global_store_short v[10:11], v24, off offset:2560
	s_or_b64 exec, exec, s[0:1]
	s_and_saveexec_b64 s[0:1], s[50:51]
	s_cbranch_execnz .LBB25_204
.LBB25_280:
	s_or_b64 exec, exec, s[0:1]
	s_and_saveexec_b64 s[0:1], s[52:53]
	s_cbranch_execz .LBB25_205
.LBB25_281:
	v_lshlrev_b32_e32 v10, 3, v53
	ds_read_b64 v[10:11], v10
	v_lshlrev_b32_e32 v22, 1, v0
	ds_read_u16 v24, v22 offset:5632
	v_mov_b32_e32 v26, s87
	s_waitcnt lgkmcnt(1)
	v_lshlrev_b64 v[10:11], 1, v[10:11]
	v_add_co_u32_e32 v10, vcc, s86, v10
	v_addc_co_u32_e32 v11, vcc, v26, v11, vcc
	v_add_co_u32_e32 v10, vcc, v10, v22
	v_addc_co_u32_e32 v11, vcc, 0, v11, vcc
	s_waitcnt lgkmcnt(0)
	global_store_short v[10:11], v24, off offset:3584
	s_or_b64 exec, exec, s[0:1]
	s_and_saveexec_b64 s[0:1], s[54:55]
	s_cbranch_execnz .LBB25_206
.LBB25_282:
	s_or_b64 exec, exec, s[0:1]
	s_and_saveexec_b64 s[0:1], s[56:57]
	s_cbranch_execz .LBB25_207
.LBB25_283:
	v_lshlrev_b32_e32 v5, 3, v47
	ds_read_b64 v[10:11], v5
	v_lshlrev_b32_e32 v5, 1, v0
	ds_read_u16 v22, v5 offset:6656
	v_mov_b32_e32 v5, s87
	s_waitcnt lgkmcnt(1)
	v_lshlrev_b64 v[10:11], 1, v[10:11]
	v_add_co_u32_e32 v10, vcc, s86, v10
	v_addc_co_u32_e32 v11, vcc, v5, v11, vcc
	v_lshlrev_b32_e32 v5, 1, v6
	v_add_co_u32_e32 v5, vcc, v10, v5
	v_addc_co_u32_e32 v6, vcc, 0, v11, vcc
	s_waitcnt lgkmcnt(0)
	global_store_short v[5:6], v22, off
	s_or_b64 exec, exec, s[0:1]
	s_and_saveexec_b64 s[0:1], s[58:59]
	s_cbranch_execnz .LBB25_208
.LBB25_284:
	s_or_b64 exec, exec, s[0:1]
	s_and_saveexec_b64 s[0:1], s[60:61]
	s_cbranch_execz .LBB25_209
.LBB25_285:
	v_lshlrev_b32_e32 v5, 3, v28
	ds_read_b64 v[5:6], v5
	v_lshlrev_b32_e32 v8, 1, v0
	ds_read_u16 v8, v8 offset:7680
	v_mov_b32_e32 v10, s87
	s_waitcnt lgkmcnt(1)
	v_lshlrev_b64 v[5:6], 1, v[5:6]
	v_add_co_u32_e32 v5, vcc, s86, v5
	v_addc_co_u32_e32 v6, vcc, v10, v6, vcc
	v_lshlrev_b32_e32 v10, 1, v13
	v_add_co_u32_e32 v5, vcc, v5, v10
	v_addc_co_u32_e32 v6, vcc, 0, v6, vcc
	s_waitcnt lgkmcnt(0)
	global_store_short v[5:6], v8, off
	s_or_b64 exec, exec, s[0:1]
	s_and_saveexec_b64 s[0:1], s[62:63]
	s_cbranch_execnz .LBB25_210
.LBB25_286:
	s_or_b64 exec, exec, s[0:1]
	s_and_saveexec_b64 s[0:1], s[64:65]
	s_cbranch_execz .LBB25_211
.LBB25_287:
	v_lshlrev_b32_e32 v5, 3, v23
	ds_read_b64 v[5:6], v5
	v_lshlrev_b32_e32 v8, 1, v0
	ds_read_u16 v8, v8 offset:8704
	v_mov_b32_e32 v10, s87
	s_waitcnt lgkmcnt(1)
	v_lshlrev_b64 v[5:6], 1, v[5:6]
	v_add_co_u32_e32 v5, vcc, s86, v5
	v_addc_co_u32_e32 v6, vcc, v10, v6, vcc
	v_lshlrev_b32_e32 v10, 1, v15
	v_add_co_u32_e32 v5, vcc, v5, v10
	v_addc_co_u32_e32 v6, vcc, 0, v6, vcc
	s_waitcnt lgkmcnt(0)
	global_store_short v[5:6], v8, off
	s_or_b64 exec, exec, s[0:1]
	s_and_saveexec_b64 s[0:1], s[66:67]
	s_cbranch_execnz .LBB25_212
.LBB25_288:
	s_or_b64 exec, exec, s[0:1]
	s_and_saveexec_b64 s[0:1], s[68:69]
	s_cbranch_execz .LBB25_213
.LBB25_289:
	v_lshlrev_b32_e32 v4, 3, v4
	ds_read_b64 v[4:5], v4
	v_lshlrev_b32_e32 v6, 1, v0
	ds_read_u16 v6, v6 offset:9728
	v_mov_b32_e32 v8, s87
	s_waitcnt lgkmcnt(1)
	v_lshlrev_b64 v[4:5], 1, v[4:5]
	v_add_co_u32_e32 v4, vcc, s86, v4
	v_addc_co_u32_e32 v5, vcc, v8, v5, vcc
	v_lshlrev_b32_e32 v8, 1, v17
	v_add_co_u32_e32 v4, vcc, v4, v8
	v_addc_co_u32_e32 v5, vcc, 0, v5, vcc
	s_waitcnt lgkmcnt(0)
	global_store_short v[4:5], v6, off
	s_or_b64 exec, exec, s[0:1]
	s_and_saveexec_b64 s[0:1], s[70:71]
	s_cbranch_execnz .LBB25_214
.LBB25_290:
	s_or_b64 exec, exec, s[0:1]
	s_and_saveexec_b64 s[0:1], s[72:73]
	s_cbranch_execz .LBB25_215
.LBB25_291:
	v_lshlrev_b32_e32 v3, 3, v3
	ds_read_b64 v[3:4], v3
	v_lshlrev_b32_e32 v5, 1, v0
	ds_read_u16 v5, v5 offset:10752
	v_mov_b32_e32 v6, s87
	s_waitcnt lgkmcnt(1)
	v_lshlrev_b64 v[3:4], 1, v[3:4]
	v_add_co_u32_e32 v3, vcc, s86, v3
	v_addc_co_u32_e32 v4, vcc, v6, v4, vcc
	v_lshlrev_b32_e32 v6, 1, v19
	v_add_co_u32_e32 v3, vcc, v3, v6
	v_addc_co_u32_e32 v4, vcc, 0, v4, vcc
	s_waitcnt lgkmcnt(0)
	global_store_short v[3:4], v5, off
	s_or_b64 exec, exec, s[0:1]
	s_add_i32 s33, s33, -1
	s_cmp_eq_u32 s6, s33
	s_cbranch_scc1 .LBB25_216
	s_branch .LBB25_217
	.section	.rodata,"a",@progbits
	.p2align	6, 0x0
	.amdhsa_kernel _ZN7rocprim17ROCPRIM_304000_NS6detail25onesweep_iteration_kernelINS1_34wrapped_radix_sort_onesweep_configINS0_14default_configEiN2at4cuda3cub6detail10OpaqueTypeILi2EEEEELb0EPiSC_PSA_SD_mNS0_19identity_decomposerEEEvT1_T2_T3_T4_jPT5_SK_PNS1_23onesweep_lookback_stateET6_jjj
		.amdhsa_group_segment_fixed_size 20480
		.amdhsa_private_segment_fixed_size 0
		.amdhsa_kernarg_size 336
		.amdhsa_user_sgpr_count 6
		.amdhsa_user_sgpr_private_segment_buffer 1
		.amdhsa_user_sgpr_dispatch_ptr 0
		.amdhsa_user_sgpr_queue_ptr 0
		.amdhsa_user_sgpr_kernarg_segment_ptr 1
		.amdhsa_user_sgpr_dispatch_id 0
		.amdhsa_user_sgpr_flat_scratch_init 0
		.amdhsa_user_sgpr_private_segment_size 0
		.amdhsa_uses_dynamic_stack 0
		.amdhsa_system_sgpr_private_segment_wavefront_offset 0
		.amdhsa_system_sgpr_workgroup_id_x 1
		.amdhsa_system_sgpr_workgroup_id_y 0
		.amdhsa_system_sgpr_workgroup_id_z 0
		.amdhsa_system_sgpr_workgroup_info 0
		.amdhsa_system_vgpr_workitem_id 2
		.amdhsa_next_free_vgpr 89
		.amdhsa_next_free_sgpr 98
		.amdhsa_reserve_vcc 1
		.amdhsa_reserve_flat_scratch 0
		.amdhsa_float_round_mode_32 0
		.amdhsa_float_round_mode_16_64 0
		.amdhsa_float_denorm_mode_32 3
		.amdhsa_float_denorm_mode_16_64 3
		.amdhsa_dx10_clamp 1
		.amdhsa_ieee_mode 1
		.amdhsa_fp16_overflow 0
		.amdhsa_exception_fp_ieee_invalid_op 0
		.amdhsa_exception_fp_denorm_src 0
		.amdhsa_exception_fp_ieee_div_zero 0
		.amdhsa_exception_fp_ieee_overflow 0
		.amdhsa_exception_fp_ieee_underflow 0
		.amdhsa_exception_fp_ieee_inexact 0
		.amdhsa_exception_int_div_zero 0
	.end_amdhsa_kernel
	.section	.text._ZN7rocprim17ROCPRIM_304000_NS6detail25onesweep_iteration_kernelINS1_34wrapped_radix_sort_onesweep_configINS0_14default_configEiN2at4cuda3cub6detail10OpaqueTypeILi2EEEEELb0EPiSC_PSA_SD_mNS0_19identity_decomposerEEEvT1_T2_T3_T4_jPT5_SK_PNS1_23onesweep_lookback_stateET6_jjj,"axG",@progbits,_ZN7rocprim17ROCPRIM_304000_NS6detail25onesweep_iteration_kernelINS1_34wrapped_radix_sort_onesweep_configINS0_14default_configEiN2at4cuda3cub6detail10OpaqueTypeILi2EEEEELb0EPiSC_PSA_SD_mNS0_19identity_decomposerEEEvT1_T2_T3_T4_jPT5_SK_PNS1_23onesweep_lookback_stateET6_jjj,comdat
.Lfunc_end25:
	.size	_ZN7rocprim17ROCPRIM_304000_NS6detail25onesweep_iteration_kernelINS1_34wrapped_radix_sort_onesweep_configINS0_14default_configEiN2at4cuda3cub6detail10OpaqueTypeILi2EEEEELb0EPiSC_PSA_SD_mNS0_19identity_decomposerEEEvT1_T2_T3_T4_jPT5_SK_PNS1_23onesweep_lookback_stateET6_jjj, .Lfunc_end25-_ZN7rocprim17ROCPRIM_304000_NS6detail25onesweep_iteration_kernelINS1_34wrapped_radix_sort_onesweep_configINS0_14default_configEiN2at4cuda3cub6detail10OpaqueTypeILi2EEEEELb0EPiSC_PSA_SD_mNS0_19identity_decomposerEEEvT1_T2_T3_T4_jPT5_SK_PNS1_23onesweep_lookback_stateET6_jjj
                                        ; -- End function
	.set _ZN7rocprim17ROCPRIM_304000_NS6detail25onesweep_iteration_kernelINS1_34wrapped_radix_sort_onesweep_configINS0_14default_configEiN2at4cuda3cub6detail10OpaqueTypeILi2EEEEELb0EPiSC_PSA_SD_mNS0_19identity_decomposerEEEvT1_T2_T3_T4_jPT5_SK_PNS1_23onesweep_lookback_stateET6_jjj.num_vgpr, 89
	.set _ZN7rocprim17ROCPRIM_304000_NS6detail25onesweep_iteration_kernelINS1_34wrapped_radix_sort_onesweep_configINS0_14default_configEiN2at4cuda3cub6detail10OpaqueTypeILi2EEEEELb0EPiSC_PSA_SD_mNS0_19identity_decomposerEEEvT1_T2_T3_T4_jPT5_SK_PNS1_23onesweep_lookback_stateET6_jjj.num_agpr, 0
	.set _ZN7rocprim17ROCPRIM_304000_NS6detail25onesweep_iteration_kernelINS1_34wrapped_radix_sort_onesweep_configINS0_14default_configEiN2at4cuda3cub6detail10OpaqueTypeILi2EEEEELb0EPiSC_PSA_SD_mNS0_19identity_decomposerEEEvT1_T2_T3_T4_jPT5_SK_PNS1_23onesweep_lookback_stateET6_jjj.numbered_sgpr, 96
	.set _ZN7rocprim17ROCPRIM_304000_NS6detail25onesweep_iteration_kernelINS1_34wrapped_radix_sort_onesweep_configINS0_14default_configEiN2at4cuda3cub6detail10OpaqueTypeILi2EEEEELb0EPiSC_PSA_SD_mNS0_19identity_decomposerEEEvT1_T2_T3_T4_jPT5_SK_PNS1_23onesweep_lookback_stateET6_jjj.num_named_barrier, 0
	.set _ZN7rocprim17ROCPRIM_304000_NS6detail25onesweep_iteration_kernelINS1_34wrapped_radix_sort_onesweep_configINS0_14default_configEiN2at4cuda3cub6detail10OpaqueTypeILi2EEEEELb0EPiSC_PSA_SD_mNS0_19identity_decomposerEEEvT1_T2_T3_T4_jPT5_SK_PNS1_23onesweep_lookback_stateET6_jjj.private_seg_size, 0
	.set _ZN7rocprim17ROCPRIM_304000_NS6detail25onesweep_iteration_kernelINS1_34wrapped_radix_sort_onesweep_configINS0_14default_configEiN2at4cuda3cub6detail10OpaqueTypeILi2EEEEELb0EPiSC_PSA_SD_mNS0_19identity_decomposerEEEvT1_T2_T3_T4_jPT5_SK_PNS1_23onesweep_lookback_stateET6_jjj.uses_vcc, 1
	.set _ZN7rocprim17ROCPRIM_304000_NS6detail25onesweep_iteration_kernelINS1_34wrapped_radix_sort_onesweep_configINS0_14default_configEiN2at4cuda3cub6detail10OpaqueTypeILi2EEEEELb0EPiSC_PSA_SD_mNS0_19identity_decomposerEEEvT1_T2_T3_T4_jPT5_SK_PNS1_23onesweep_lookback_stateET6_jjj.uses_flat_scratch, 0
	.set _ZN7rocprim17ROCPRIM_304000_NS6detail25onesweep_iteration_kernelINS1_34wrapped_radix_sort_onesweep_configINS0_14default_configEiN2at4cuda3cub6detail10OpaqueTypeILi2EEEEELb0EPiSC_PSA_SD_mNS0_19identity_decomposerEEEvT1_T2_T3_T4_jPT5_SK_PNS1_23onesweep_lookback_stateET6_jjj.has_dyn_sized_stack, 0
	.set _ZN7rocprim17ROCPRIM_304000_NS6detail25onesweep_iteration_kernelINS1_34wrapped_radix_sort_onesweep_configINS0_14default_configEiN2at4cuda3cub6detail10OpaqueTypeILi2EEEEELb0EPiSC_PSA_SD_mNS0_19identity_decomposerEEEvT1_T2_T3_T4_jPT5_SK_PNS1_23onesweep_lookback_stateET6_jjj.has_recursion, 0
	.set _ZN7rocprim17ROCPRIM_304000_NS6detail25onesweep_iteration_kernelINS1_34wrapped_radix_sort_onesweep_configINS0_14default_configEiN2at4cuda3cub6detail10OpaqueTypeILi2EEEEELb0EPiSC_PSA_SD_mNS0_19identity_decomposerEEEvT1_T2_T3_T4_jPT5_SK_PNS1_23onesweep_lookback_stateET6_jjj.has_indirect_call, 0
	.section	.AMDGPU.csdata,"",@progbits
; Kernel info:
; codeLenInByte = 26556
; TotalNumSgprs: 100
; NumVgprs: 89
; ScratchSize: 0
; MemoryBound: 0
; FloatMode: 240
; IeeeMode: 1
; LDSByteSize: 20480 bytes/workgroup (compile time only)
; SGPRBlocks: 12
; VGPRBlocks: 22
; NumSGPRsForWavesPerEU: 102
; NumVGPRsForWavesPerEU: 89
; Occupancy: 2
; WaveLimiterHint : 1
; COMPUTE_PGM_RSRC2:SCRATCH_EN: 0
; COMPUTE_PGM_RSRC2:USER_SGPR: 6
; COMPUTE_PGM_RSRC2:TRAP_HANDLER: 0
; COMPUTE_PGM_RSRC2:TGID_X_EN: 1
; COMPUTE_PGM_RSRC2:TGID_Y_EN: 0
; COMPUTE_PGM_RSRC2:TGID_Z_EN: 0
; COMPUTE_PGM_RSRC2:TIDIG_COMP_CNT: 2
	.section	.AMDGPU.gpr_maximums,"",@progbits
	.set amdgpu.max_num_vgpr, 0
	.set amdgpu.max_num_agpr, 0
	.set amdgpu.max_num_sgpr, 0
	.section	.AMDGPU.csdata,"",@progbits
	.type	__hip_cuid_b73493072e7fdeb7,@object ; @__hip_cuid_b73493072e7fdeb7
	.section	.bss,"aw",@nobits
	.globl	__hip_cuid_b73493072e7fdeb7
__hip_cuid_b73493072e7fdeb7:
	.byte	0                               ; 0x0
	.size	__hip_cuid_b73493072e7fdeb7, 1

	.ident	"AMD clang version 22.0.0git (https://github.com/RadeonOpenCompute/llvm-project roc-7.2.4 26084 f58b06dce1f9c15707c5f808fd002e18c2accf7e)"
	.section	".note.GNU-stack","",@progbits
	.addrsig
	.addrsig_sym __hip_cuid_b73493072e7fdeb7
	.amdgpu_metadata
---
amdhsa.kernels:
  - .args:
      - .address_space:  global
        .offset:         0
        .size:           8
        .value_kind:     global_buffer
      - .address_space:  global
        .offset:         8
        .size:           8
        .value_kind:     global_buffer
      - .address_space:  global
        .offset:         16
        .size:           8
        .value_kind:     global_buffer
      - .address_space:  global
        .offset:         24
        .size:           8
        .value_kind:     global_buffer
      - .offset:         32
        .size:           4
        .value_kind:     by_value
      - .offset:         36
        .size:           1
        .value_kind:     by_value
      - .offset:         40
        .size:           4
        .value_kind:     by_value
      - .offset:         44
        .size:           4
        .value_kind:     by_value
      - .offset:         48
        .size:           4
        .value_kind:     hidden_block_count_x
      - .offset:         52
        .size:           4
        .value_kind:     hidden_block_count_y
      - .offset:         56
        .size:           4
        .value_kind:     hidden_block_count_z
      - .offset:         60
        .size:           2
        .value_kind:     hidden_group_size_x
      - .offset:         62
        .size:           2
        .value_kind:     hidden_group_size_y
      - .offset:         64
        .size:           2
        .value_kind:     hidden_group_size_z
      - .offset:         66
        .size:           2
        .value_kind:     hidden_remainder_x
      - .offset:         68
        .size:           2
        .value_kind:     hidden_remainder_y
      - .offset:         70
        .size:           2
        .value_kind:     hidden_remainder_z
      - .offset:         88
        .size:           8
        .value_kind:     hidden_global_offset_x
      - .offset:         96
        .size:           8
        .value_kind:     hidden_global_offset_y
      - .offset:         104
        .size:           8
        .value_kind:     hidden_global_offset_z
      - .offset:         112
        .size:           2
        .value_kind:     hidden_grid_dims
    .group_segment_fixed_size: 4112
    .kernarg_segment_align: 8
    .kernarg_segment_size: 304
    .language:       OpenCL C
    .language_version:
      - 2
      - 0
    .max_flat_workgroup_size: 256
    .name:           _ZN7rocprim17ROCPRIM_304000_NS6detail28radix_sort_block_sort_kernelINS1_36wrapped_radix_sort_block_sort_configINS0_13kernel_configILj256ELj4ELj4294967295EEEiN2at4cuda3cub6detail10OpaqueTypeILi2EEEEELb1EPKiPiPKSB_PSB_NS0_19identity_decomposerEEEvT1_T2_T3_T4_jT5_jj
    .private_segment_fixed_size: 0
    .sgpr_count:     50
    .sgpr_spill_count: 0
    .symbol:         _ZN7rocprim17ROCPRIM_304000_NS6detail28radix_sort_block_sort_kernelINS1_36wrapped_radix_sort_block_sort_configINS0_13kernel_configILj256ELj4ELj4294967295EEEiN2at4cuda3cub6detail10OpaqueTypeILi2EEEEELb1EPKiPiPKSB_PSB_NS0_19identity_decomposerEEEvT1_T2_T3_T4_jT5_jj.kd
    .uniform_work_group_size: 1
    .uses_dynamic_stack: false
    .vgpr_count:     47
    .vgpr_spill_count: 0
    .wavefront_size: 64
  - .args:           []
    .group_segment_fixed_size: 0
    .kernarg_segment_align: 4
    .kernarg_segment_size: 0
    .language:       OpenCL C
    .language_version:
      - 2
      - 0
    .max_flat_workgroup_size: 1024
    .name:           _ZN7rocprim17ROCPRIM_304000_NS6detail39device_merge_sort_compile_time_verifierINS1_36wrapped_merge_sort_block_sort_configINS1_28merge_sort_block_sort_configILj256ELj4ELNS0_20block_sort_algorithmE0EEEiN2at4cuda3cub6detail10OpaqueTypeILi2EEEEENS1_37wrapped_merge_sort_block_merge_configINS0_14default_configEiSC_EEEEvv
    .private_segment_fixed_size: 0
    .sgpr_count:     4
    .sgpr_spill_count: 0
    .symbol:         _ZN7rocprim17ROCPRIM_304000_NS6detail39device_merge_sort_compile_time_verifierINS1_36wrapped_merge_sort_block_sort_configINS1_28merge_sort_block_sort_configILj256ELj4ELNS0_20block_sort_algorithmE0EEEiN2at4cuda3cub6detail10OpaqueTypeILi2EEEEENS1_37wrapped_merge_sort_block_merge_configINS0_14default_configEiSC_EEEEvv.kd
    .uniform_work_group_size: 1
    .uses_dynamic_stack: false
    .vgpr_count:     0
    .vgpr_spill_count: 0
    .wavefront_size: 64
  - .args:
      - .address_space:  global
        .offset:         0
        .size:           8
        .value_kind:     global_buffer
      - .offset:         8
        .size:           4
        .value_kind:     by_value
      - .offset:         12
        .size:           4
        .value_kind:     by_value
      - .address_space:  global
        .offset:         16
        .size:           8
        .value_kind:     global_buffer
      - .offset:         24
        .size:           1
        .value_kind:     by_value
      - .offset:         28
        .size:           4
        .value_kind:     by_value
    .group_segment_fixed_size: 0
    .kernarg_segment_align: 8
    .kernarg_segment_size: 32
    .language:       OpenCL C
    .language_version:
      - 2
      - 0
    .max_flat_workgroup_size: 128
    .name:           _ZN7rocprim17ROCPRIM_304000_NS6detail45device_block_merge_mergepath_partition_kernelINS1_37wrapped_merge_sort_block_merge_configINS0_14default_configEiN2at4cuda3cub6detail10OpaqueTypeILi2EEEEEPijNS1_19radix_merge_compareILb1ELb0EiNS0_19identity_decomposerEEEEEvT0_T1_jPSH_T2_SH_
    .private_segment_fixed_size: 0
    .sgpr_count:     11
    .sgpr_spill_count: 0
    .symbol:         _ZN7rocprim17ROCPRIM_304000_NS6detail45device_block_merge_mergepath_partition_kernelINS1_37wrapped_merge_sort_block_merge_configINS0_14default_configEiN2at4cuda3cub6detail10OpaqueTypeILi2EEEEEPijNS1_19radix_merge_compareILb1ELb0EiNS0_19identity_decomposerEEEEEvT0_T1_jPSH_T2_SH_.kd
    .uniform_work_group_size: 1
    .uses_dynamic_stack: false
    .vgpr_count:     17
    .vgpr_spill_count: 0
    .wavefront_size: 64
  - .args:
      - .address_space:  global
        .offset:         0
        .size:           8
        .value_kind:     global_buffer
      - .address_space:  global
        .offset:         8
        .size:           8
        .value_kind:     global_buffer
      - .address_space:  global
        .offset:         16
        .size:           8
        .value_kind:     global_buffer
      - .address_space:  global
        .offset:         24
        .size:           8
        .value_kind:     global_buffer
      - .offset:         32
        .size:           4
        .value_kind:     by_value
      - .offset:         36
        .size:           4
        .value_kind:     by_value
      - .offset:         40
        .size:           4
        .value_kind:     by_value
      - .offset:         44
        .size:           1
        .value_kind:     by_value
      - .address_space:  global
        .offset:         48
        .size:           8
        .value_kind:     global_buffer
      - .address_space:  global
        .offset:         56
        .size:           8
        .value_kind:     global_buffer
      - .offset:         64
        .size:           4
        .value_kind:     hidden_block_count_x
      - .offset:         68
        .size:           4
        .value_kind:     hidden_block_count_y
      - .offset:         72
        .size:           4
        .value_kind:     hidden_block_count_z
      - .offset:         76
        .size:           2
        .value_kind:     hidden_group_size_x
      - .offset:         78
        .size:           2
        .value_kind:     hidden_group_size_y
      - .offset:         80
        .size:           2
        .value_kind:     hidden_group_size_z
      - .offset:         82
        .size:           2
        .value_kind:     hidden_remainder_x
      - .offset:         84
        .size:           2
        .value_kind:     hidden_remainder_y
      - .offset:         86
        .size:           2
        .value_kind:     hidden_remainder_z
      - .offset:         104
        .size:           8
        .value_kind:     hidden_global_offset_x
      - .offset:         112
        .size:           8
        .value_kind:     hidden_global_offset_y
      - .offset:         120
        .size:           8
        .value_kind:     hidden_global_offset_z
      - .offset:         128
        .size:           2
        .value_kind:     hidden_grid_dims
    .group_segment_fixed_size: 4224
    .kernarg_segment_align: 8
    .kernarg_segment_size: 320
    .language:       OpenCL C
    .language_version:
      - 2
      - 0
    .max_flat_workgroup_size: 128
    .name:           _ZN7rocprim17ROCPRIM_304000_NS6detail35device_block_merge_mergepath_kernelINS1_37wrapped_merge_sort_block_merge_configINS0_14default_configEiN2at4cuda3cub6detail10OpaqueTypeILi2EEEEEPiSC_PSA_SD_jNS1_19radix_merge_compareILb1ELb0EiNS0_19identity_decomposerEEEEEvT0_T1_T2_T3_T4_SL_jT5_PKSL_NS1_7vsmem_tE
    .private_segment_fixed_size: 0
    .sgpr_count:     38
    .sgpr_spill_count: 0
    .symbol:         _ZN7rocprim17ROCPRIM_304000_NS6detail35device_block_merge_mergepath_kernelINS1_37wrapped_merge_sort_block_merge_configINS0_14default_configEiN2at4cuda3cub6detail10OpaqueTypeILi2EEEEEPiSC_PSA_SD_jNS1_19radix_merge_compareILb1ELb0EiNS0_19identity_decomposerEEEEEvT0_T1_T2_T3_T4_SL_jT5_PKSL_NS1_7vsmem_tE.kd
    .uniform_work_group_size: 1
    .uses_dynamic_stack: false
    .vgpr_count:     33
    .vgpr_spill_count: 0
    .wavefront_size: 64
  - .args:
      - .address_space:  global
        .offset:         0
        .size:           8
        .value_kind:     global_buffer
      - .address_space:  global
        .offset:         8
        .size:           8
        .value_kind:     global_buffer
      - .address_space:  global
        .offset:         16
        .size:           8
        .value_kind:     global_buffer
      - .address_space:  global
        .offset:         24
        .size:           8
        .value_kind:     global_buffer
      - .offset:         32
        .size:           4
        .value_kind:     by_value
      - .offset:         36
        .size:           4
        .value_kind:     by_value
      - .offset:         40
        .size:           1
        .value_kind:     by_value
    .group_segment_fixed_size: 0
    .kernarg_segment_align: 8
    .kernarg_segment_size: 44
    .language:       OpenCL C
    .language_version:
      - 2
      - 0
    .max_flat_workgroup_size: 256
    .name:           _ZN7rocprim17ROCPRIM_304000_NS6detail33device_block_merge_oddeven_kernelINS1_37wrapped_merge_sort_block_merge_configINS0_14default_configEiN2at4cuda3cub6detail10OpaqueTypeILi2EEEEEPiSC_PSA_SD_jNS1_19radix_merge_compareILb1ELb0EiNS0_19identity_decomposerEEEEEvT0_T1_T2_T3_T4_SL_T5_
    .private_segment_fixed_size: 0
    .sgpr_count:     26
    .sgpr_spill_count: 0
    .symbol:         _ZN7rocprim17ROCPRIM_304000_NS6detail33device_block_merge_oddeven_kernelINS1_37wrapped_merge_sort_block_merge_configINS0_14default_configEiN2at4cuda3cub6detail10OpaqueTypeILi2EEEEEPiSC_PSA_SD_jNS1_19radix_merge_compareILb1ELb0EiNS0_19identity_decomposerEEEEEvT0_T1_T2_T3_T4_SL_T5_.kd
    .uniform_work_group_size: 1
    .uses_dynamic_stack: false
    .vgpr_count:     11
    .vgpr_spill_count: 0
    .wavefront_size: 64
  - .args:
      - .address_space:  global
        .offset:         0
        .size:           8
        .value_kind:     global_buffer
      - .offset:         8
        .size:           8
        .value_kind:     by_value
      - .address_space:  global
        .offset:         16
        .size:           8
        .value_kind:     global_buffer
      - .offset:         24
        .size:           1
        .value_kind:     by_value
      - .offset:         32
        .size:           4
        .value_kind:     hidden_block_count_x
      - .offset:         36
        .size:           4
        .value_kind:     hidden_block_count_y
      - .offset:         40
        .size:           4
        .value_kind:     hidden_block_count_z
      - .offset:         44
        .size:           2
        .value_kind:     hidden_group_size_x
      - .offset:         46
        .size:           2
        .value_kind:     hidden_group_size_y
      - .offset:         48
        .size:           2
        .value_kind:     hidden_group_size_z
      - .offset:         50
        .size:           2
        .value_kind:     hidden_remainder_x
      - .offset:         52
        .size:           2
        .value_kind:     hidden_remainder_y
      - .offset:         54
        .size:           2
        .value_kind:     hidden_remainder_z
      - .offset:         72
        .size:           8
        .value_kind:     hidden_global_offset_x
      - .offset:         80
        .size:           8
        .value_kind:     hidden_global_offset_y
      - .offset:         88
        .size:           8
        .value_kind:     hidden_global_offset_z
      - .offset:         96
        .size:           2
        .value_kind:     hidden_grid_dims
    .group_segment_fixed_size: 0
    .kernarg_segment_align: 8
    .kernarg_segment_size: 288
    .language:       OpenCL C
    .language_version:
      - 2
      - 0
    .max_flat_workgroup_size: 1024
    .name:           _ZN7rocprim17ROCPRIM_304000_NS6detail16transform_kernelINS1_24wrapped_transform_configINS0_14default_configEiEEiPiS6_NS0_8identityIiEEEEvT1_mT2_T3_
    .private_segment_fixed_size: 0
    .sgpr_count:     16
    .sgpr_spill_count: 0
    .symbol:         _ZN7rocprim17ROCPRIM_304000_NS6detail16transform_kernelINS1_24wrapped_transform_configINS0_14default_configEiEEiPiS6_NS0_8identityIiEEEEvT1_mT2_T3_.kd
    .uniform_work_group_size: 1
    .uses_dynamic_stack: false
    .vgpr_count:     8
    .vgpr_spill_count: 0
    .wavefront_size: 64
  - .args:
      - .address_space:  global
        .offset:         0
        .size:           8
        .value_kind:     global_buffer
      - .offset:         8
        .size:           8
        .value_kind:     by_value
      - .address_space:  global
        .offset:         16
        .size:           8
        .value_kind:     global_buffer
      - .offset:         24
        .size:           1
        .value_kind:     by_value
      - .offset:         32
        .size:           4
        .value_kind:     hidden_block_count_x
      - .offset:         36
        .size:           4
        .value_kind:     hidden_block_count_y
      - .offset:         40
        .size:           4
        .value_kind:     hidden_block_count_z
      - .offset:         44
        .size:           2
        .value_kind:     hidden_group_size_x
      - .offset:         46
        .size:           2
        .value_kind:     hidden_group_size_y
      - .offset:         48
        .size:           2
        .value_kind:     hidden_group_size_z
      - .offset:         50
        .size:           2
        .value_kind:     hidden_remainder_x
      - .offset:         52
        .size:           2
        .value_kind:     hidden_remainder_y
      - .offset:         54
        .size:           2
        .value_kind:     hidden_remainder_z
      - .offset:         72
        .size:           8
        .value_kind:     hidden_global_offset_x
      - .offset:         80
        .size:           8
        .value_kind:     hidden_global_offset_y
      - .offset:         88
        .size:           8
        .value_kind:     hidden_global_offset_z
      - .offset:         96
        .size:           2
        .value_kind:     hidden_grid_dims
    .group_segment_fixed_size: 0
    .kernarg_segment_align: 8
    .kernarg_segment_size: 288
    .language:       OpenCL C
    .language_version:
      - 2
      - 0
    .max_flat_workgroup_size: 512
    .name:           _ZN7rocprim17ROCPRIM_304000_NS6detail16transform_kernelINS1_24wrapped_transform_configINS0_14default_configEN2at4cuda3cub6detail10OpaqueTypeILi2EEEEESA_PSA_SC_NS0_8identityISA_EEEEvT1_mT2_T3_
    .private_segment_fixed_size: 0
    .sgpr_count:     16
    .sgpr_spill_count: 0
    .symbol:         _ZN7rocprim17ROCPRIM_304000_NS6detail16transform_kernelINS1_24wrapped_transform_configINS0_14default_configEN2at4cuda3cub6detail10OpaqueTypeILi2EEEEESA_PSA_SC_NS0_8identityISA_EEEEvT1_mT2_T3_.kd
    .uniform_work_group_size: 1
    .uses_dynamic_stack: false
    .vgpr_count:     8
    .vgpr_spill_count: 0
    .wavefront_size: 64
  - .args:
      - .address_space:  global
        .offset:         0
        .size:           8
        .value_kind:     global_buffer
      - .offset:         8
        .size:           4
        .value_kind:     by_value
      - .offset:         12
        .size:           4
        .value_kind:     by_value
      - .address_space:  global
        .offset:         16
        .size:           8
        .value_kind:     global_buffer
      - .offset:         24
        .size:           4
        .value_kind:     by_value
      - .offset:         28
        .size:           4
        .value_kind:     by_value
    .group_segment_fixed_size: 0
    .kernarg_segment_align: 8
    .kernarg_segment_size: 32
    .language:       OpenCL C
    .language_version:
      - 2
      - 0
    .max_flat_workgroup_size: 128
    .name:           _ZN7rocprim17ROCPRIM_304000_NS6detail45device_block_merge_mergepath_partition_kernelINS1_37wrapped_merge_sort_block_merge_configINS0_14default_configEiN2at4cuda3cub6detail10OpaqueTypeILi2EEEEEPijNS1_19radix_merge_compareILb1ELb1EiNS0_19identity_decomposerEEEEEvT0_T1_jPSH_T2_SH_
    .private_segment_fixed_size: 0
    .sgpr_count:     12
    .sgpr_spill_count: 0
    .symbol:         _ZN7rocprim17ROCPRIM_304000_NS6detail45device_block_merge_mergepath_partition_kernelINS1_37wrapped_merge_sort_block_merge_configINS0_14default_configEiN2at4cuda3cub6detail10OpaqueTypeILi2EEEEEPijNS1_19radix_merge_compareILb1ELb1EiNS0_19identity_decomposerEEEEEvT0_T1_jPSH_T2_SH_.kd
    .uniform_work_group_size: 1
    .uses_dynamic_stack: false
    .vgpr_count:     17
    .vgpr_spill_count: 0
    .wavefront_size: 64
  - .args:
      - .address_space:  global
        .offset:         0
        .size:           8
        .value_kind:     global_buffer
      - .address_space:  global
        .offset:         8
        .size:           8
        .value_kind:     global_buffer
      - .address_space:  global
        .offset:         16
        .size:           8
        .value_kind:     global_buffer
      - .address_space:  global
        .offset:         24
        .size:           8
        .value_kind:     global_buffer
      - .offset:         32
        .size:           4
        .value_kind:     by_value
      - .offset:         36
        .size:           4
        .value_kind:     by_value
      - .offset:         40
        .size:           4
        .value_kind:     by_value
      - .offset:         44
        .size:           4
        .value_kind:     by_value
      - .address_space:  global
        .offset:         48
        .size:           8
        .value_kind:     global_buffer
      - .address_space:  global
        .offset:         56
        .size:           8
        .value_kind:     global_buffer
      - .offset:         64
        .size:           4
        .value_kind:     hidden_block_count_x
      - .offset:         68
        .size:           4
        .value_kind:     hidden_block_count_y
      - .offset:         72
        .size:           4
        .value_kind:     hidden_block_count_z
      - .offset:         76
        .size:           2
        .value_kind:     hidden_group_size_x
      - .offset:         78
        .size:           2
        .value_kind:     hidden_group_size_y
      - .offset:         80
        .size:           2
        .value_kind:     hidden_group_size_z
      - .offset:         82
        .size:           2
        .value_kind:     hidden_remainder_x
      - .offset:         84
        .size:           2
        .value_kind:     hidden_remainder_y
      - .offset:         86
        .size:           2
        .value_kind:     hidden_remainder_z
      - .offset:         104
        .size:           8
        .value_kind:     hidden_global_offset_x
      - .offset:         112
        .size:           8
        .value_kind:     hidden_global_offset_y
      - .offset:         120
        .size:           8
        .value_kind:     hidden_global_offset_z
      - .offset:         128
        .size:           2
        .value_kind:     hidden_grid_dims
    .group_segment_fixed_size: 4224
    .kernarg_segment_align: 8
    .kernarg_segment_size: 320
    .language:       OpenCL C
    .language_version:
      - 2
      - 0
    .max_flat_workgroup_size: 128
    .name:           _ZN7rocprim17ROCPRIM_304000_NS6detail35device_block_merge_mergepath_kernelINS1_37wrapped_merge_sort_block_merge_configINS0_14default_configEiN2at4cuda3cub6detail10OpaqueTypeILi2EEEEEPiSC_PSA_SD_jNS1_19radix_merge_compareILb1ELb1EiNS0_19identity_decomposerEEEEEvT0_T1_T2_T3_T4_SL_jT5_PKSL_NS1_7vsmem_tE
    .private_segment_fixed_size: 0
    .sgpr_count:     39
    .sgpr_spill_count: 0
    .symbol:         _ZN7rocprim17ROCPRIM_304000_NS6detail35device_block_merge_mergepath_kernelINS1_37wrapped_merge_sort_block_merge_configINS0_14default_configEiN2at4cuda3cub6detail10OpaqueTypeILi2EEEEEPiSC_PSA_SD_jNS1_19radix_merge_compareILb1ELb1EiNS0_19identity_decomposerEEEEEvT0_T1_T2_T3_T4_SL_jT5_PKSL_NS1_7vsmem_tE.kd
    .uniform_work_group_size: 1
    .uses_dynamic_stack: false
    .vgpr_count:     33
    .vgpr_spill_count: 0
    .wavefront_size: 64
  - .args:
      - .address_space:  global
        .offset:         0
        .size:           8
        .value_kind:     global_buffer
      - .address_space:  global
        .offset:         8
        .size:           8
        .value_kind:     global_buffer
      - .address_space:  global
        .offset:         16
        .size:           8
        .value_kind:     global_buffer
      - .address_space:  global
        .offset:         24
        .size:           8
        .value_kind:     global_buffer
      - .offset:         32
        .size:           4
        .value_kind:     by_value
      - .offset:         36
        .size:           4
        .value_kind:     by_value
      - .offset:         40
        .size:           4
        .value_kind:     by_value
    .group_segment_fixed_size: 0
    .kernarg_segment_align: 8
    .kernarg_segment_size: 44
    .language:       OpenCL C
    .language_version:
      - 2
      - 0
    .max_flat_workgroup_size: 256
    .name:           _ZN7rocprim17ROCPRIM_304000_NS6detail33device_block_merge_oddeven_kernelINS1_37wrapped_merge_sort_block_merge_configINS0_14default_configEiN2at4cuda3cub6detail10OpaqueTypeILi2EEEEEPiSC_PSA_SD_jNS1_19radix_merge_compareILb1ELb1EiNS0_19identity_decomposerEEEEEvT0_T1_T2_T3_T4_SL_T5_
    .private_segment_fixed_size: 0
    .sgpr_count:     28
    .sgpr_spill_count: 0
    .symbol:         _ZN7rocprim17ROCPRIM_304000_NS6detail33device_block_merge_oddeven_kernelINS1_37wrapped_merge_sort_block_merge_configINS0_14default_configEiN2at4cuda3cub6detail10OpaqueTypeILi2EEEEEPiSC_PSA_SD_jNS1_19radix_merge_compareILb1ELb1EiNS0_19identity_decomposerEEEEEvT0_T1_T2_T3_T4_SL_T5_.kd
    .uniform_work_group_size: 1
    .uses_dynamic_stack: false
    .vgpr_count:     12
    .vgpr_spill_count: 0
    .wavefront_size: 64
  - .args:
      - .address_space:  global
        .offset:         0
        .size:           8
        .value_kind:     global_buffer
      - .address_space:  global
        .offset:         8
        .size:           8
        .value_kind:     global_buffer
      - .offset:         16
        .size:           8
        .value_kind:     by_value
      - .offset:         24
        .size:           8
        .value_kind:     by_value
      - .offset:         32
        .size:           1
        .value_kind:     by_value
      - .offset:         36
        .size:           4
        .value_kind:     by_value
      - .offset:         40
        .size:           4
        .value_kind:     by_value
    .group_segment_fixed_size: 16384
    .kernarg_segment_align: 8
    .kernarg_segment_size: 44
    .language:       OpenCL C
    .language_version:
      - 2
      - 0
    .max_flat_workgroup_size: 256
    .name:           _ZN7rocprim17ROCPRIM_304000_NS6detail26onesweep_histograms_kernelINS1_34wrapped_radix_sort_onesweep_configINS0_14default_configEiN2at4cuda3cub6detail10OpaqueTypeILi2EEEEELb1EPKimNS0_19identity_decomposerEEEvT1_PT2_SG_SG_T3_jj
    .private_segment_fixed_size: 0
    .sgpr_count:     55
    .sgpr_spill_count: 0
    .symbol:         _ZN7rocprim17ROCPRIM_304000_NS6detail26onesweep_histograms_kernelINS1_34wrapped_radix_sort_onesweep_configINS0_14default_configEiN2at4cuda3cub6detail10OpaqueTypeILi2EEEEELb1EPKimNS0_19identity_decomposerEEEvT1_PT2_SG_SG_T3_jj.kd
    .uniform_work_group_size: 1
    .uses_dynamic_stack: false
    .vgpr_count:     29
    .vgpr_spill_count: 0
    .wavefront_size: 64
  - .args:
      - .address_space:  global
        .offset:         0
        .size:           8
        .value_kind:     global_buffer
    .group_segment_fixed_size: 32
    .kernarg_segment_align: 8
    .kernarg_segment_size: 8
    .language:       OpenCL C
    .language_version:
      - 2
      - 0
    .max_flat_workgroup_size: 256
    .name:           _ZN7rocprim17ROCPRIM_304000_NS6detail31onesweep_scan_histograms_kernelINS1_34wrapped_radix_sort_onesweep_configINS0_14default_configEiN2at4cuda3cub6detail10OpaqueTypeILi2EEEEEmEEvPT0_
    .private_segment_fixed_size: 0
    .sgpr_count:     12
    .sgpr_spill_count: 0
    .symbol:         _ZN7rocprim17ROCPRIM_304000_NS6detail31onesweep_scan_histograms_kernelINS1_34wrapped_radix_sort_onesweep_configINS0_14default_configEiN2at4cuda3cub6detail10OpaqueTypeILi2EEEEEmEEvPT0_.kd
    .uniform_work_group_size: 1
    .uses_dynamic_stack: false
    .vgpr_count:     12
    .vgpr_spill_count: 0
    .wavefront_size: 64
  - .args:
      - .address_space:  global
        .offset:         0
        .size:           8
        .value_kind:     global_buffer
      - .offset:         8
        .size:           8
        .value_kind:     by_value
      - .address_space:  global
        .offset:         16
        .size:           8
        .value_kind:     global_buffer
      - .offset:         24
        .size:           1
        .value_kind:     by_value
      - .offset:         32
        .size:           4
        .value_kind:     hidden_block_count_x
      - .offset:         36
        .size:           4
        .value_kind:     hidden_block_count_y
      - .offset:         40
        .size:           4
        .value_kind:     hidden_block_count_z
      - .offset:         44
        .size:           2
        .value_kind:     hidden_group_size_x
      - .offset:         46
        .size:           2
        .value_kind:     hidden_group_size_y
      - .offset:         48
        .size:           2
        .value_kind:     hidden_group_size_z
      - .offset:         50
        .size:           2
        .value_kind:     hidden_remainder_x
      - .offset:         52
        .size:           2
        .value_kind:     hidden_remainder_y
      - .offset:         54
        .size:           2
        .value_kind:     hidden_remainder_z
      - .offset:         72
        .size:           8
        .value_kind:     hidden_global_offset_x
      - .offset:         80
        .size:           8
        .value_kind:     hidden_global_offset_y
      - .offset:         88
        .size:           8
        .value_kind:     hidden_global_offset_z
      - .offset:         96
        .size:           2
        .value_kind:     hidden_grid_dims
    .group_segment_fixed_size: 0
    .kernarg_segment_align: 8
    .kernarg_segment_size: 288
    .language:       OpenCL C
    .language_version:
      - 2
      - 0
    .max_flat_workgroup_size: 1024
    .name:           _ZN7rocprim17ROCPRIM_304000_NS6detail16transform_kernelINS1_24wrapped_transform_configINS0_14default_configEiEEiPKiPiNS0_8identityIiEEEEvT1_mT2_T3_
    .private_segment_fixed_size: 0
    .sgpr_count:     16
    .sgpr_spill_count: 0
    .symbol:         _ZN7rocprim17ROCPRIM_304000_NS6detail16transform_kernelINS1_24wrapped_transform_configINS0_14default_configEiEEiPKiPiNS0_8identityIiEEEEvT1_mT2_T3_.kd
    .uniform_work_group_size: 1
    .uses_dynamic_stack: false
    .vgpr_count:     8
    .vgpr_spill_count: 0
    .wavefront_size: 64
  - .args:
      - .address_space:  global
        .offset:         0
        .size:           8
        .value_kind:     global_buffer
      - .offset:         8
        .size:           8
        .value_kind:     by_value
      - .address_space:  global
        .offset:         16
        .size:           8
        .value_kind:     global_buffer
      - .offset:         24
        .size:           1
        .value_kind:     by_value
      - .offset:         32
        .size:           4
        .value_kind:     hidden_block_count_x
      - .offset:         36
        .size:           4
        .value_kind:     hidden_block_count_y
      - .offset:         40
        .size:           4
        .value_kind:     hidden_block_count_z
      - .offset:         44
        .size:           2
        .value_kind:     hidden_group_size_x
      - .offset:         46
        .size:           2
        .value_kind:     hidden_group_size_y
      - .offset:         48
        .size:           2
        .value_kind:     hidden_group_size_z
      - .offset:         50
        .size:           2
        .value_kind:     hidden_remainder_x
      - .offset:         52
        .size:           2
        .value_kind:     hidden_remainder_y
      - .offset:         54
        .size:           2
        .value_kind:     hidden_remainder_z
      - .offset:         72
        .size:           8
        .value_kind:     hidden_global_offset_x
      - .offset:         80
        .size:           8
        .value_kind:     hidden_global_offset_y
      - .offset:         88
        .size:           8
        .value_kind:     hidden_global_offset_z
      - .offset:         96
        .size:           2
        .value_kind:     hidden_grid_dims
    .group_segment_fixed_size: 0
    .kernarg_segment_align: 8
    .kernarg_segment_size: 288
    .language:       OpenCL C
    .language_version:
      - 2
      - 0
    .max_flat_workgroup_size: 512
    .name:           _ZN7rocprim17ROCPRIM_304000_NS6detail16transform_kernelINS1_24wrapped_transform_configINS0_14default_configEN2at4cuda3cub6detail10OpaqueTypeILi2EEEEESA_PKSA_PSA_NS0_8identityISA_EEEEvT1_mT2_T3_
    .private_segment_fixed_size: 0
    .sgpr_count:     16
    .sgpr_spill_count: 0
    .symbol:         _ZN7rocprim17ROCPRIM_304000_NS6detail16transform_kernelINS1_24wrapped_transform_configINS0_14default_configEN2at4cuda3cub6detail10OpaqueTypeILi2EEEEESA_PKSA_PSA_NS0_8identityISA_EEEEvT1_mT2_T3_.kd
    .uniform_work_group_size: 1
    .uses_dynamic_stack: false
    .vgpr_count:     8
    .vgpr_spill_count: 0
    .wavefront_size: 64
  - .args:
      - .address_space:  global
        .offset:         0
        .size:           8
        .value_kind:     global_buffer
      - .address_space:  global
        .offset:         8
        .size:           8
        .value_kind:     global_buffer
      - .address_space:  global
        .offset:         16
        .size:           8
        .value_kind:     global_buffer
      - .address_space:  global
        .offset:         24
        .size:           8
        .value_kind:     global_buffer
      - .offset:         32
        .size:           4
        .value_kind:     by_value
      - .address_space:  global
        .offset:         40
        .size:           8
        .value_kind:     global_buffer
      - .address_space:  global
        .offset:         48
        .size:           8
        .value_kind:     global_buffer
      - .address_space:  global
        .offset:         56
        .size:           8
        .value_kind:     global_buffer
      - .offset:         64
        .size:           1
        .value_kind:     by_value
      - .offset:         68
        .size:           4
        .value_kind:     by_value
      - .offset:         72
        .size:           4
        .value_kind:     by_value
      - .offset:         76
        .size:           4
        .value_kind:     by_value
      - .offset:         80
        .size:           4
        .value_kind:     hidden_block_count_x
      - .offset:         84
        .size:           4
        .value_kind:     hidden_block_count_y
      - .offset:         88
        .size:           4
        .value_kind:     hidden_block_count_z
      - .offset:         92
        .size:           2
        .value_kind:     hidden_group_size_x
      - .offset:         94
        .size:           2
        .value_kind:     hidden_group_size_y
      - .offset:         96
        .size:           2
        .value_kind:     hidden_group_size_z
      - .offset:         98
        .size:           2
        .value_kind:     hidden_remainder_x
      - .offset:         100
        .size:           2
        .value_kind:     hidden_remainder_y
      - .offset:         102
        .size:           2
        .value_kind:     hidden_remainder_z
      - .offset:         120
        .size:           8
        .value_kind:     hidden_global_offset_x
      - .offset:         128
        .size:           8
        .value_kind:     hidden_global_offset_y
      - .offset:         136
        .size:           8
        .value_kind:     hidden_global_offset_z
      - .offset:         144
        .size:           2
        .value_kind:     hidden_grid_dims
    .group_segment_fixed_size: 20480
    .kernarg_segment_align: 8
    .kernarg_segment_size: 336
    .language:       OpenCL C
    .language_version:
      - 2
      - 0
    .max_flat_workgroup_size: 256
    .name:           _ZN7rocprim17ROCPRIM_304000_NS6detail25onesweep_iteration_kernelINS1_34wrapped_radix_sort_onesweep_configINS0_14default_configEiN2at4cuda3cub6detail10OpaqueTypeILi2EEEEELb1EPKiPiPKSA_PSA_mNS0_19identity_decomposerEEEvT1_T2_T3_T4_jPT5_SO_PNS1_23onesweep_lookback_stateET6_jjj
    .private_segment_fixed_size: 0
    .sgpr_count:     100
    .sgpr_spill_count: 4
    .symbol:         _ZN7rocprim17ROCPRIM_304000_NS6detail25onesweep_iteration_kernelINS1_34wrapped_radix_sort_onesweep_configINS0_14default_configEiN2at4cuda3cub6detail10OpaqueTypeILi2EEEEELb1EPKiPiPKSA_PSA_mNS0_19identity_decomposerEEEvT1_T2_T3_T4_jPT5_SO_PNS1_23onesweep_lookback_stateET6_jjj.kd
    .uniform_work_group_size: 1
    .uses_dynamic_stack: false
    .vgpr_count:     89
    .vgpr_spill_count: 0
    .wavefront_size: 64
  - .args:
      - .address_space:  global
        .offset:         0
        .size:           8
        .value_kind:     global_buffer
      - .address_space:  global
        .offset:         8
        .size:           8
        .value_kind:     global_buffer
      - .address_space:  global
        .offset:         16
        .size:           8
        .value_kind:     global_buffer
      - .address_space:  global
        .offset:         24
        .size:           8
        .value_kind:     global_buffer
      - .offset:         32
        .size:           4
        .value_kind:     by_value
      - .address_space:  global
        .offset:         40
        .size:           8
        .value_kind:     global_buffer
      - .address_space:  global
        .offset:         48
        .size:           8
        .value_kind:     global_buffer
      - .address_space:  global
        .offset:         56
        .size:           8
        .value_kind:     global_buffer
      - .offset:         64
        .size:           1
        .value_kind:     by_value
      - .offset:         68
        .size:           4
        .value_kind:     by_value
      - .offset:         72
        .size:           4
        .value_kind:     by_value
      - .offset:         76
        .size:           4
        .value_kind:     by_value
      - .offset:         80
        .size:           4
        .value_kind:     hidden_block_count_x
      - .offset:         84
        .size:           4
        .value_kind:     hidden_block_count_y
      - .offset:         88
        .size:           4
        .value_kind:     hidden_block_count_z
      - .offset:         92
        .size:           2
        .value_kind:     hidden_group_size_x
      - .offset:         94
        .size:           2
        .value_kind:     hidden_group_size_y
      - .offset:         96
        .size:           2
        .value_kind:     hidden_group_size_z
      - .offset:         98
        .size:           2
        .value_kind:     hidden_remainder_x
      - .offset:         100
        .size:           2
        .value_kind:     hidden_remainder_y
      - .offset:         102
        .size:           2
        .value_kind:     hidden_remainder_z
      - .offset:         120
        .size:           8
        .value_kind:     hidden_global_offset_x
      - .offset:         128
        .size:           8
        .value_kind:     hidden_global_offset_y
      - .offset:         136
        .size:           8
        .value_kind:     hidden_global_offset_z
      - .offset:         144
        .size:           2
        .value_kind:     hidden_grid_dims
    .group_segment_fixed_size: 20480
    .kernarg_segment_align: 8
    .kernarg_segment_size: 336
    .language:       OpenCL C
    .language_version:
      - 2
      - 0
    .max_flat_workgroup_size: 256
    .name:           _ZN7rocprim17ROCPRIM_304000_NS6detail25onesweep_iteration_kernelINS1_34wrapped_radix_sort_onesweep_configINS0_14default_configEiN2at4cuda3cub6detail10OpaqueTypeILi2EEEEELb1EPiSC_PSA_SD_mNS0_19identity_decomposerEEEvT1_T2_T3_T4_jPT5_SK_PNS1_23onesweep_lookback_stateET6_jjj
    .private_segment_fixed_size: 0
    .sgpr_count:     100
    .sgpr_spill_count: 4
    .symbol:         _ZN7rocprim17ROCPRIM_304000_NS6detail25onesweep_iteration_kernelINS1_34wrapped_radix_sort_onesweep_configINS0_14default_configEiN2at4cuda3cub6detail10OpaqueTypeILi2EEEEELb1EPiSC_PSA_SD_mNS0_19identity_decomposerEEEvT1_T2_T3_T4_jPT5_SK_PNS1_23onesweep_lookback_stateET6_jjj.kd
    .uniform_work_group_size: 1
    .uses_dynamic_stack: false
    .vgpr_count:     89
    .vgpr_spill_count: 0
    .wavefront_size: 64
  - .args:
      - .address_space:  global
        .offset:         0
        .size:           8
        .value_kind:     global_buffer
      - .address_space:  global
        .offset:         8
        .size:           8
        .value_kind:     global_buffer
      - .address_space:  global
        .offset:         16
        .size:           8
        .value_kind:     global_buffer
      - .address_space:  global
        .offset:         24
        .size:           8
        .value_kind:     global_buffer
      - .offset:         32
        .size:           4
        .value_kind:     by_value
      - .offset:         36
        .size:           1
        .value_kind:     by_value
      - .offset:         40
        .size:           4
        .value_kind:     by_value
      - .offset:         44
        .size:           4
        .value_kind:     by_value
      - .offset:         48
        .size:           4
        .value_kind:     hidden_block_count_x
      - .offset:         52
        .size:           4
        .value_kind:     hidden_block_count_y
      - .offset:         56
        .size:           4
        .value_kind:     hidden_block_count_z
      - .offset:         60
        .size:           2
        .value_kind:     hidden_group_size_x
      - .offset:         62
        .size:           2
        .value_kind:     hidden_group_size_y
      - .offset:         64
        .size:           2
        .value_kind:     hidden_group_size_z
      - .offset:         66
        .size:           2
        .value_kind:     hidden_remainder_x
      - .offset:         68
        .size:           2
        .value_kind:     hidden_remainder_y
      - .offset:         70
        .size:           2
        .value_kind:     hidden_remainder_z
      - .offset:         88
        .size:           8
        .value_kind:     hidden_global_offset_x
      - .offset:         96
        .size:           8
        .value_kind:     hidden_global_offset_y
      - .offset:         104
        .size:           8
        .value_kind:     hidden_global_offset_z
      - .offset:         112
        .size:           2
        .value_kind:     hidden_grid_dims
    .group_segment_fixed_size: 4112
    .kernarg_segment_align: 8
    .kernarg_segment_size: 304
    .language:       OpenCL C
    .language_version:
      - 2
      - 0
    .max_flat_workgroup_size: 256
    .name:           _ZN7rocprim17ROCPRIM_304000_NS6detail28radix_sort_block_sort_kernelINS1_36wrapped_radix_sort_block_sort_configINS0_13kernel_configILj256ELj4ELj4294967295EEEiN2at4cuda3cub6detail10OpaqueTypeILi2EEEEELb0EPKiPiPKSB_PSB_NS0_19identity_decomposerEEEvT1_T2_T3_T4_jT5_jj
    .private_segment_fixed_size: 0
    .sgpr_count:     50
    .sgpr_spill_count: 0
    .symbol:         _ZN7rocprim17ROCPRIM_304000_NS6detail28radix_sort_block_sort_kernelINS1_36wrapped_radix_sort_block_sort_configINS0_13kernel_configILj256ELj4ELj4294967295EEEiN2at4cuda3cub6detail10OpaqueTypeILi2EEEEELb0EPKiPiPKSB_PSB_NS0_19identity_decomposerEEEvT1_T2_T3_T4_jT5_jj.kd
    .uniform_work_group_size: 1
    .uses_dynamic_stack: false
    .vgpr_count:     47
    .vgpr_spill_count: 0
    .wavefront_size: 64
  - .args:
      - .address_space:  global
        .offset:         0
        .size:           8
        .value_kind:     global_buffer
      - .offset:         8
        .size:           4
        .value_kind:     by_value
      - .offset:         12
        .size:           4
        .value_kind:     by_value
      - .address_space:  global
        .offset:         16
        .size:           8
        .value_kind:     global_buffer
      - .offset:         24
        .size:           1
        .value_kind:     by_value
      - .offset:         28
        .size:           4
        .value_kind:     by_value
    .group_segment_fixed_size: 0
    .kernarg_segment_align: 8
    .kernarg_segment_size: 32
    .language:       OpenCL C
    .language_version:
      - 2
      - 0
    .max_flat_workgroup_size: 128
    .name:           _ZN7rocprim17ROCPRIM_304000_NS6detail45device_block_merge_mergepath_partition_kernelINS1_37wrapped_merge_sort_block_merge_configINS0_14default_configEiN2at4cuda3cub6detail10OpaqueTypeILi2EEEEEPijNS1_19radix_merge_compareILb0ELb0EiNS0_19identity_decomposerEEEEEvT0_T1_jPSH_T2_SH_
    .private_segment_fixed_size: 0
    .sgpr_count:     11
    .sgpr_spill_count: 0
    .symbol:         _ZN7rocprim17ROCPRIM_304000_NS6detail45device_block_merge_mergepath_partition_kernelINS1_37wrapped_merge_sort_block_merge_configINS0_14default_configEiN2at4cuda3cub6detail10OpaqueTypeILi2EEEEEPijNS1_19radix_merge_compareILb0ELb0EiNS0_19identity_decomposerEEEEEvT0_T1_jPSH_T2_SH_.kd
    .uniform_work_group_size: 1
    .uses_dynamic_stack: false
    .vgpr_count:     17
    .vgpr_spill_count: 0
    .wavefront_size: 64
  - .args:
      - .address_space:  global
        .offset:         0
        .size:           8
        .value_kind:     global_buffer
      - .address_space:  global
        .offset:         8
        .size:           8
        .value_kind:     global_buffer
      - .address_space:  global
        .offset:         16
        .size:           8
        .value_kind:     global_buffer
      - .address_space:  global
        .offset:         24
        .size:           8
        .value_kind:     global_buffer
      - .offset:         32
        .size:           4
        .value_kind:     by_value
      - .offset:         36
        .size:           4
        .value_kind:     by_value
      - .offset:         40
        .size:           4
        .value_kind:     by_value
      - .offset:         44
        .size:           1
        .value_kind:     by_value
      - .address_space:  global
        .offset:         48
        .size:           8
        .value_kind:     global_buffer
      - .address_space:  global
        .offset:         56
        .size:           8
        .value_kind:     global_buffer
      - .offset:         64
        .size:           4
        .value_kind:     hidden_block_count_x
      - .offset:         68
        .size:           4
        .value_kind:     hidden_block_count_y
      - .offset:         72
        .size:           4
        .value_kind:     hidden_block_count_z
      - .offset:         76
        .size:           2
        .value_kind:     hidden_group_size_x
      - .offset:         78
        .size:           2
        .value_kind:     hidden_group_size_y
      - .offset:         80
        .size:           2
        .value_kind:     hidden_group_size_z
      - .offset:         82
        .size:           2
        .value_kind:     hidden_remainder_x
      - .offset:         84
        .size:           2
        .value_kind:     hidden_remainder_y
      - .offset:         86
        .size:           2
        .value_kind:     hidden_remainder_z
      - .offset:         104
        .size:           8
        .value_kind:     hidden_global_offset_x
      - .offset:         112
        .size:           8
        .value_kind:     hidden_global_offset_y
      - .offset:         120
        .size:           8
        .value_kind:     hidden_global_offset_z
      - .offset:         128
        .size:           2
        .value_kind:     hidden_grid_dims
    .group_segment_fixed_size: 4224
    .kernarg_segment_align: 8
    .kernarg_segment_size: 320
    .language:       OpenCL C
    .language_version:
      - 2
      - 0
    .max_flat_workgroup_size: 128
    .name:           _ZN7rocprim17ROCPRIM_304000_NS6detail35device_block_merge_mergepath_kernelINS1_37wrapped_merge_sort_block_merge_configINS0_14default_configEiN2at4cuda3cub6detail10OpaqueTypeILi2EEEEEPiSC_PSA_SD_jNS1_19radix_merge_compareILb0ELb0EiNS0_19identity_decomposerEEEEEvT0_T1_T2_T3_T4_SL_jT5_PKSL_NS1_7vsmem_tE
    .private_segment_fixed_size: 0
    .sgpr_count:     38
    .sgpr_spill_count: 0
    .symbol:         _ZN7rocprim17ROCPRIM_304000_NS6detail35device_block_merge_mergepath_kernelINS1_37wrapped_merge_sort_block_merge_configINS0_14default_configEiN2at4cuda3cub6detail10OpaqueTypeILi2EEEEEPiSC_PSA_SD_jNS1_19radix_merge_compareILb0ELb0EiNS0_19identity_decomposerEEEEEvT0_T1_T2_T3_T4_SL_jT5_PKSL_NS1_7vsmem_tE.kd
    .uniform_work_group_size: 1
    .uses_dynamic_stack: false
    .vgpr_count:     33
    .vgpr_spill_count: 0
    .wavefront_size: 64
  - .args:
      - .address_space:  global
        .offset:         0
        .size:           8
        .value_kind:     global_buffer
      - .address_space:  global
        .offset:         8
        .size:           8
        .value_kind:     global_buffer
      - .address_space:  global
        .offset:         16
        .size:           8
        .value_kind:     global_buffer
      - .address_space:  global
        .offset:         24
        .size:           8
        .value_kind:     global_buffer
      - .offset:         32
        .size:           4
        .value_kind:     by_value
      - .offset:         36
        .size:           4
        .value_kind:     by_value
      - .offset:         40
        .size:           1
        .value_kind:     by_value
    .group_segment_fixed_size: 0
    .kernarg_segment_align: 8
    .kernarg_segment_size: 44
    .language:       OpenCL C
    .language_version:
      - 2
      - 0
    .max_flat_workgroup_size: 256
    .name:           _ZN7rocprim17ROCPRIM_304000_NS6detail33device_block_merge_oddeven_kernelINS1_37wrapped_merge_sort_block_merge_configINS0_14default_configEiN2at4cuda3cub6detail10OpaqueTypeILi2EEEEEPiSC_PSA_SD_jNS1_19radix_merge_compareILb0ELb0EiNS0_19identity_decomposerEEEEEvT0_T1_T2_T3_T4_SL_T5_
    .private_segment_fixed_size: 0
    .sgpr_count:     26
    .sgpr_spill_count: 0
    .symbol:         _ZN7rocprim17ROCPRIM_304000_NS6detail33device_block_merge_oddeven_kernelINS1_37wrapped_merge_sort_block_merge_configINS0_14default_configEiN2at4cuda3cub6detail10OpaqueTypeILi2EEEEEPiSC_PSA_SD_jNS1_19radix_merge_compareILb0ELb0EiNS0_19identity_decomposerEEEEEvT0_T1_T2_T3_T4_SL_T5_.kd
    .uniform_work_group_size: 1
    .uses_dynamic_stack: false
    .vgpr_count:     11
    .vgpr_spill_count: 0
    .wavefront_size: 64
  - .args:
      - .address_space:  global
        .offset:         0
        .size:           8
        .value_kind:     global_buffer
      - .offset:         8
        .size:           4
        .value_kind:     by_value
      - .offset:         12
        .size:           4
        .value_kind:     by_value
      - .address_space:  global
        .offset:         16
        .size:           8
        .value_kind:     global_buffer
      - .offset:         24
        .size:           4
        .value_kind:     by_value
      - .offset:         28
        .size:           4
        .value_kind:     by_value
    .group_segment_fixed_size: 0
    .kernarg_segment_align: 8
    .kernarg_segment_size: 32
    .language:       OpenCL C
    .language_version:
      - 2
      - 0
    .max_flat_workgroup_size: 128
    .name:           _ZN7rocprim17ROCPRIM_304000_NS6detail45device_block_merge_mergepath_partition_kernelINS1_37wrapped_merge_sort_block_merge_configINS0_14default_configEiN2at4cuda3cub6detail10OpaqueTypeILi2EEEEEPijNS1_19radix_merge_compareILb0ELb1EiNS0_19identity_decomposerEEEEEvT0_T1_jPSH_T2_SH_
    .private_segment_fixed_size: 0
    .sgpr_count:     12
    .sgpr_spill_count: 0
    .symbol:         _ZN7rocprim17ROCPRIM_304000_NS6detail45device_block_merge_mergepath_partition_kernelINS1_37wrapped_merge_sort_block_merge_configINS0_14default_configEiN2at4cuda3cub6detail10OpaqueTypeILi2EEEEEPijNS1_19radix_merge_compareILb0ELb1EiNS0_19identity_decomposerEEEEEvT0_T1_jPSH_T2_SH_.kd
    .uniform_work_group_size: 1
    .uses_dynamic_stack: false
    .vgpr_count:     17
    .vgpr_spill_count: 0
    .wavefront_size: 64
  - .args:
      - .address_space:  global
        .offset:         0
        .size:           8
        .value_kind:     global_buffer
      - .address_space:  global
        .offset:         8
        .size:           8
        .value_kind:     global_buffer
      - .address_space:  global
        .offset:         16
        .size:           8
        .value_kind:     global_buffer
      - .address_space:  global
        .offset:         24
        .size:           8
        .value_kind:     global_buffer
      - .offset:         32
        .size:           4
        .value_kind:     by_value
      - .offset:         36
        .size:           4
        .value_kind:     by_value
      - .offset:         40
        .size:           4
        .value_kind:     by_value
      - .offset:         44
        .size:           4
        .value_kind:     by_value
      - .address_space:  global
        .offset:         48
        .size:           8
        .value_kind:     global_buffer
      - .address_space:  global
        .offset:         56
        .size:           8
        .value_kind:     global_buffer
      - .offset:         64
        .size:           4
        .value_kind:     hidden_block_count_x
      - .offset:         68
        .size:           4
        .value_kind:     hidden_block_count_y
      - .offset:         72
        .size:           4
        .value_kind:     hidden_block_count_z
      - .offset:         76
        .size:           2
        .value_kind:     hidden_group_size_x
      - .offset:         78
        .size:           2
        .value_kind:     hidden_group_size_y
      - .offset:         80
        .size:           2
        .value_kind:     hidden_group_size_z
      - .offset:         82
        .size:           2
        .value_kind:     hidden_remainder_x
      - .offset:         84
        .size:           2
        .value_kind:     hidden_remainder_y
      - .offset:         86
        .size:           2
        .value_kind:     hidden_remainder_z
      - .offset:         104
        .size:           8
        .value_kind:     hidden_global_offset_x
      - .offset:         112
        .size:           8
        .value_kind:     hidden_global_offset_y
      - .offset:         120
        .size:           8
        .value_kind:     hidden_global_offset_z
      - .offset:         128
        .size:           2
        .value_kind:     hidden_grid_dims
    .group_segment_fixed_size: 4224
    .kernarg_segment_align: 8
    .kernarg_segment_size: 320
    .language:       OpenCL C
    .language_version:
      - 2
      - 0
    .max_flat_workgroup_size: 128
    .name:           _ZN7rocprim17ROCPRIM_304000_NS6detail35device_block_merge_mergepath_kernelINS1_37wrapped_merge_sort_block_merge_configINS0_14default_configEiN2at4cuda3cub6detail10OpaqueTypeILi2EEEEEPiSC_PSA_SD_jNS1_19radix_merge_compareILb0ELb1EiNS0_19identity_decomposerEEEEEvT0_T1_T2_T3_T4_SL_jT5_PKSL_NS1_7vsmem_tE
    .private_segment_fixed_size: 0
    .sgpr_count:     39
    .sgpr_spill_count: 0
    .symbol:         _ZN7rocprim17ROCPRIM_304000_NS6detail35device_block_merge_mergepath_kernelINS1_37wrapped_merge_sort_block_merge_configINS0_14default_configEiN2at4cuda3cub6detail10OpaqueTypeILi2EEEEEPiSC_PSA_SD_jNS1_19radix_merge_compareILb0ELb1EiNS0_19identity_decomposerEEEEEvT0_T1_T2_T3_T4_SL_jT5_PKSL_NS1_7vsmem_tE.kd
    .uniform_work_group_size: 1
    .uses_dynamic_stack: false
    .vgpr_count:     33
    .vgpr_spill_count: 0
    .wavefront_size: 64
  - .args:
      - .address_space:  global
        .offset:         0
        .size:           8
        .value_kind:     global_buffer
      - .address_space:  global
        .offset:         8
        .size:           8
        .value_kind:     global_buffer
      - .address_space:  global
        .offset:         16
        .size:           8
        .value_kind:     global_buffer
      - .address_space:  global
        .offset:         24
        .size:           8
        .value_kind:     global_buffer
      - .offset:         32
        .size:           4
        .value_kind:     by_value
      - .offset:         36
        .size:           4
        .value_kind:     by_value
      - .offset:         40
        .size:           4
        .value_kind:     by_value
    .group_segment_fixed_size: 0
    .kernarg_segment_align: 8
    .kernarg_segment_size: 44
    .language:       OpenCL C
    .language_version:
      - 2
      - 0
    .max_flat_workgroup_size: 256
    .name:           _ZN7rocprim17ROCPRIM_304000_NS6detail33device_block_merge_oddeven_kernelINS1_37wrapped_merge_sort_block_merge_configINS0_14default_configEiN2at4cuda3cub6detail10OpaqueTypeILi2EEEEEPiSC_PSA_SD_jNS1_19radix_merge_compareILb0ELb1EiNS0_19identity_decomposerEEEEEvT0_T1_T2_T3_T4_SL_T5_
    .private_segment_fixed_size: 0
    .sgpr_count:     28
    .sgpr_spill_count: 0
    .symbol:         _ZN7rocprim17ROCPRIM_304000_NS6detail33device_block_merge_oddeven_kernelINS1_37wrapped_merge_sort_block_merge_configINS0_14default_configEiN2at4cuda3cub6detail10OpaqueTypeILi2EEEEEPiSC_PSA_SD_jNS1_19radix_merge_compareILb0ELb1EiNS0_19identity_decomposerEEEEEvT0_T1_T2_T3_T4_SL_T5_.kd
    .uniform_work_group_size: 1
    .uses_dynamic_stack: false
    .vgpr_count:     12
    .vgpr_spill_count: 0
    .wavefront_size: 64
  - .args:
      - .address_space:  global
        .offset:         0
        .size:           8
        .value_kind:     global_buffer
      - .address_space:  global
        .offset:         8
        .size:           8
        .value_kind:     global_buffer
      - .offset:         16
        .size:           8
        .value_kind:     by_value
      - .offset:         24
        .size:           8
        .value_kind:     by_value
      - .offset:         32
        .size:           1
        .value_kind:     by_value
      - .offset:         36
        .size:           4
        .value_kind:     by_value
      - .offset:         40
        .size:           4
        .value_kind:     by_value
    .group_segment_fixed_size: 16384
    .kernarg_segment_align: 8
    .kernarg_segment_size: 44
    .language:       OpenCL C
    .language_version:
      - 2
      - 0
    .max_flat_workgroup_size: 256
    .name:           _ZN7rocprim17ROCPRIM_304000_NS6detail26onesweep_histograms_kernelINS1_34wrapped_radix_sort_onesweep_configINS0_14default_configEiN2at4cuda3cub6detail10OpaqueTypeILi2EEEEELb0EPKimNS0_19identity_decomposerEEEvT1_PT2_SG_SG_T3_jj
    .private_segment_fixed_size: 0
    .sgpr_count:     55
    .sgpr_spill_count: 0
    .symbol:         _ZN7rocprim17ROCPRIM_304000_NS6detail26onesweep_histograms_kernelINS1_34wrapped_radix_sort_onesweep_configINS0_14default_configEiN2at4cuda3cub6detail10OpaqueTypeILi2EEEEELb0EPKimNS0_19identity_decomposerEEEvT1_PT2_SG_SG_T3_jj.kd
    .uniform_work_group_size: 1
    .uses_dynamic_stack: false
    .vgpr_count:     29
    .vgpr_spill_count: 0
    .wavefront_size: 64
  - .args:
      - .address_space:  global
        .offset:         0
        .size:           8
        .value_kind:     global_buffer
      - .address_space:  global
        .offset:         8
        .size:           8
        .value_kind:     global_buffer
      - .address_space:  global
        .offset:         16
        .size:           8
        .value_kind:     global_buffer
      - .address_space:  global
        .offset:         24
        .size:           8
        .value_kind:     global_buffer
      - .offset:         32
        .size:           4
        .value_kind:     by_value
      - .address_space:  global
        .offset:         40
        .size:           8
        .value_kind:     global_buffer
      - .address_space:  global
        .offset:         48
        .size:           8
        .value_kind:     global_buffer
      - .address_space:  global
        .offset:         56
        .size:           8
        .value_kind:     global_buffer
      - .offset:         64
        .size:           1
        .value_kind:     by_value
      - .offset:         68
        .size:           4
        .value_kind:     by_value
      - .offset:         72
        .size:           4
        .value_kind:     by_value
      - .offset:         76
        .size:           4
        .value_kind:     by_value
      - .offset:         80
        .size:           4
        .value_kind:     hidden_block_count_x
      - .offset:         84
        .size:           4
        .value_kind:     hidden_block_count_y
      - .offset:         88
        .size:           4
        .value_kind:     hidden_block_count_z
      - .offset:         92
        .size:           2
        .value_kind:     hidden_group_size_x
      - .offset:         94
        .size:           2
        .value_kind:     hidden_group_size_y
      - .offset:         96
        .size:           2
        .value_kind:     hidden_group_size_z
      - .offset:         98
        .size:           2
        .value_kind:     hidden_remainder_x
      - .offset:         100
        .size:           2
        .value_kind:     hidden_remainder_y
      - .offset:         102
        .size:           2
        .value_kind:     hidden_remainder_z
      - .offset:         120
        .size:           8
        .value_kind:     hidden_global_offset_x
      - .offset:         128
        .size:           8
        .value_kind:     hidden_global_offset_y
      - .offset:         136
        .size:           8
        .value_kind:     hidden_global_offset_z
      - .offset:         144
        .size:           2
        .value_kind:     hidden_grid_dims
    .group_segment_fixed_size: 20480
    .kernarg_segment_align: 8
    .kernarg_segment_size: 336
    .language:       OpenCL C
    .language_version:
      - 2
      - 0
    .max_flat_workgroup_size: 256
    .name:           _ZN7rocprim17ROCPRIM_304000_NS6detail25onesweep_iteration_kernelINS1_34wrapped_radix_sort_onesweep_configINS0_14default_configEiN2at4cuda3cub6detail10OpaqueTypeILi2EEEEELb0EPKiPiPKSA_PSA_mNS0_19identity_decomposerEEEvT1_T2_T3_T4_jPT5_SO_PNS1_23onesweep_lookback_stateET6_jjj
    .private_segment_fixed_size: 0
    .sgpr_count:     100
    .sgpr_spill_count: 4
    .symbol:         _ZN7rocprim17ROCPRIM_304000_NS6detail25onesweep_iteration_kernelINS1_34wrapped_radix_sort_onesweep_configINS0_14default_configEiN2at4cuda3cub6detail10OpaqueTypeILi2EEEEELb0EPKiPiPKSA_PSA_mNS0_19identity_decomposerEEEvT1_T2_T3_T4_jPT5_SO_PNS1_23onesweep_lookback_stateET6_jjj.kd
    .uniform_work_group_size: 1
    .uses_dynamic_stack: false
    .vgpr_count:     89
    .vgpr_spill_count: 0
    .wavefront_size: 64
  - .args:
      - .address_space:  global
        .offset:         0
        .size:           8
        .value_kind:     global_buffer
      - .address_space:  global
        .offset:         8
        .size:           8
        .value_kind:     global_buffer
      - .address_space:  global
        .offset:         16
        .size:           8
        .value_kind:     global_buffer
      - .address_space:  global
        .offset:         24
        .size:           8
        .value_kind:     global_buffer
      - .offset:         32
        .size:           4
        .value_kind:     by_value
      - .address_space:  global
        .offset:         40
        .size:           8
        .value_kind:     global_buffer
      - .address_space:  global
        .offset:         48
        .size:           8
        .value_kind:     global_buffer
      - .address_space:  global
        .offset:         56
        .size:           8
        .value_kind:     global_buffer
      - .offset:         64
        .size:           1
        .value_kind:     by_value
      - .offset:         68
        .size:           4
        .value_kind:     by_value
      - .offset:         72
        .size:           4
        .value_kind:     by_value
      - .offset:         76
        .size:           4
        .value_kind:     by_value
      - .offset:         80
        .size:           4
        .value_kind:     hidden_block_count_x
      - .offset:         84
        .size:           4
        .value_kind:     hidden_block_count_y
      - .offset:         88
        .size:           4
        .value_kind:     hidden_block_count_z
      - .offset:         92
        .size:           2
        .value_kind:     hidden_group_size_x
      - .offset:         94
        .size:           2
        .value_kind:     hidden_group_size_y
      - .offset:         96
        .size:           2
        .value_kind:     hidden_group_size_z
      - .offset:         98
        .size:           2
        .value_kind:     hidden_remainder_x
      - .offset:         100
        .size:           2
        .value_kind:     hidden_remainder_y
      - .offset:         102
        .size:           2
        .value_kind:     hidden_remainder_z
      - .offset:         120
        .size:           8
        .value_kind:     hidden_global_offset_x
      - .offset:         128
        .size:           8
        .value_kind:     hidden_global_offset_y
      - .offset:         136
        .size:           8
        .value_kind:     hidden_global_offset_z
      - .offset:         144
        .size:           2
        .value_kind:     hidden_grid_dims
    .group_segment_fixed_size: 20480
    .kernarg_segment_align: 8
    .kernarg_segment_size: 336
    .language:       OpenCL C
    .language_version:
      - 2
      - 0
    .max_flat_workgroup_size: 256
    .name:           _ZN7rocprim17ROCPRIM_304000_NS6detail25onesweep_iteration_kernelINS1_34wrapped_radix_sort_onesweep_configINS0_14default_configEiN2at4cuda3cub6detail10OpaqueTypeILi2EEEEELb0EPiSC_PSA_SD_mNS0_19identity_decomposerEEEvT1_T2_T3_T4_jPT5_SK_PNS1_23onesweep_lookback_stateET6_jjj
    .private_segment_fixed_size: 0
    .sgpr_count:     100
    .sgpr_spill_count: 4
    .symbol:         _ZN7rocprim17ROCPRIM_304000_NS6detail25onesweep_iteration_kernelINS1_34wrapped_radix_sort_onesweep_configINS0_14default_configEiN2at4cuda3cub6detail10OpaqueTypeILi2EEEEELb0EPiSC_PSA_SD_mNS0_19identity_decomposerEEEvT1_T2_T3_T4_jPT5_SK_PNS1_23onesweep_lookback_stateET6_jjj.kd
    .uniform_work_group_size: 1
    .uses_dynamic_stack: false
    .vgpr_count:     89
    .vgpr_spill_count: 0
    .wavefront_size: 64
amdhsa.target:   amdgcn-amd-amdhsa--gfx906
amdhsa.version:
  - 1
  - 2
...

	.end_amdgpu_metadata
